;; amdgpu-corpus repo=LLNL/RAJAPerf kind=compiled arch=gfx1250 opt=O3
	.amdgcn_target "amdgcn-amd-amdhsa--gfx1250"
	.amdhsa_code_object_version 6
	.text
	.protected	_Z13matMultKerneliPdS_S_ ; -- Begin function _Z13matMultKerneliPdS_S_
	.globl	_Z13matMultKerneliPdS_S_
	.p2align	8
	.type	_Z13matMultKerneliPdS_S_,@function
_Z13matMultKerneliPdS_S_:               ; @_Z13matMultKerneliPdS_S_
; %bb.0:
	s_clause 0x1
	s_load_b32 s2, s[0:1], 0x2c
	s_load_b32 s8, s[0:1], 0x0
	s_bfe_u32 s4, ttmp6, 0x4000c
	s_bfe_u32 s5, ttmp6, 0x40010
	s_add_co_i32 s4, s4, 1
	s_add_co_i32 s5, s5, 1
	s_and_b32 s3, ttmp6, 15
	s_bfe_u32 s6, ttmp6, 0x40004
	s_mul_i32 s4, ttmp9, s4
	s_mul_i32 s5, ttmp7, s5
	s_getreg_b32 s7, hwreg(HW_REG_IB_STS2, 6, 4)
	v_bfe_u32 v1, v0, 10, 10
	v_and_b32_e32 v2, 0x3ff, v0
	s_add_co_i32 s3, s3, s4
	s_add_co_i32 s6, s6, s5
	s_wait_kmcnt 0x0
	s_lshr_b32 s4, s2, 16
	s_and_b32 s2, s2, 0xffff
	s_cmp_eq_u32 s7, 0
	s_cselect_b32 s5, ttmp7, s6
	s_cselect_b32 s3, ttmp9, s3
	v_mad_u32 v0, s5, s4, v1
	v_mad_u32 v6, s3, s2, v2
	s_mov_b32 s2, exec_lo
	s_delay_alu instid0(VALU_DEP_1) | instskip(NEXT) | instid1(VALU_DEP_1)
	v_max_i32_e32 v1, v0, v6
	v_cmpx_gt_i32_e64 s8, v1
	s_cbranch_execz .LBB0_6
; %bb.1:
	s_clause 0x1
	s_load_b128 s[4:7], s[0:1], 0x8
	s_load_b64 s[2:3], s[0:1], 0x18
	v_mul_lo_u32 v0, v0, s8
	s_cmp_lt_i32 s8, 1
	s_cbranch_scc1 .LBB0_4
; %bb.2:
	s_delay_alu instid0(VALU_DEP_1)
	v_ashrrev_i32_e32 v1, 31, v0
	v_mov_b64_e32 v[2:3], 0
	s_wait_xcnt 0x0
	s_mov_b32 s0, s8
	s_wait_kmcnt 0x0
	v_lshl_add_u64 v[4:5], v[0:1], 3, s[6:7]
	v_mov_b32_e32 v1, v6
.LBB0_3:                                ; =>This Inner Loop Header: Depth=1
	global_load_b64 v[8:9], v[4:5], off
	global_load_b64 v[10:11], v1, s[2:3] scale_offset
	s_wait_xcnt 0x1
	v_add_nc_u64_e32 v[4:5], 8, v[4:5]
	s_wait_xcnt 0x0
	v_add_nc_u32_e32 v1, s8, v1
	s_add_co_i32 s0, s0, -1
	s_delay_alu instid0(SALU_CYCLE_1)
	s_cmp_eq_u32 s0, 0
	s_wait_loadcnt 0x0
	v_fmac_f64_e32 v[2:3], v[8:9], v[10:11]
	s_cbranch_scc0 .LBB0_3
	s_branch .LBB0_5
.LBB0_4:
	v_mov_b64_e32 v[2:3], 0
.LBB0_5:
	s_delay_alu instid0(VALU_DEP_2)
	v_add_nc_u32_e32 v0, v6, v0
	s_wait_kmcnt 0x0
	global_store_b64 v0, v[2:3], s[4:5] scale_offset
.LBB0_6:
	s_endpgm
	.section	.rodata,"a",@progbits
	.p2align	6, 0x0
	.amdhsa_kernel _Z13matMultKerneliPdS_S_
		.amdhsa_group_segment_fixed_size 0
		.amdhsa_private_segment_fixed_size 0
		.amdhsa_kernarg_size 288
		.amdhsa_user_sgpr_count 2
		.amdhsa_user_sgpr_dispatch_ptr 0
		.amdhsa_user_sgpr_queue_ptr 0
		.amdhsa_user_sgpr_kernarg_segment_ptr 1
		.amdhsa_user_sgpr_dispatch_id 0
		.amdhsa_user_sgpr_kernarg_preload_length 0
		.amdhsa_user_sgpr_kernarg_preload_offset 0
		.amdhsa_user_sgpr_private_segment_size 0
		.amdhsa_wavefront_size32 1
		.amdhsa_uses_dynamic_stack 0
		.amdhsa_enable_private_segment 0
		.amdhsa_system_sgpr_workgroup_id_x 1
		.amdhsa_system_sgpr_workgroup_id_y 1
		.amdhsa_system_sgpr_workgroup_id_z 0
		.amdhsa_system_sgpr_workgroup_info 0
		.amdhsa_system_vgpr_workitem_id 1
		.amdhsa_next_free_vgpr 12
		.amdhsa_next_free_sgpr 9
		.amdhsa_named_barrier_count 0
		.amdhsa_reserve_vcc 0
		.amdhsa_float_round_mode_32 0
		.amdhsa_float_round_mode_16_64 0
		.amdhsa_float_denorm_mode_32 3
		.amdhsa_float_denorm_mode_16_64 3
		.amdhsa_fp16_overflow 0
		.amdhsa_memory_ordered 1
		.amdhsa_forward_progress 1
		.amdhsa_inst_pref_size 3
		.amdhsa_round_robin_scheduling 0
		.amdhsa_exception_fp_ieee_invalid_op 0
		.amdhsa_exception_fp_denorm_src 0
		.amdhsa_exception_fp_ieee_div_zero 0
		.amdhsa_exception_fp_ieee_overflow 0
		.amdhsa_exception_fp_ieee_underflow 0
		.amdhsa_exception_fp_ieee_inexact 0
		.amdhsa_exception_int_div_zero 0
	.end_amdhsa_kernel
	.text
.Lfunc_end0:
	.size	_Z13matMultKerneliPdS_S_, .Lfunc_end0-_Z13matMultKerneliPdS_S_
                                        ; -- End function
	.set _Z13matMultKerneliPdS_S_.num_vgpr, 12
	.set _Z13matMultKerneliPdS_S_.num_agpr, 0
	.set _Z13matMultKerneliPdS_S_.numbered_sgpr, 9
	.set _Z13matMultKerneliPdS_S_.num_named_barrier, 0
	.set _Z13matMultKerneliPdS_S_.private_seg_size, 0
	.set _Z13matMultKerneliPdS_S_.uses_vcc, 0
	.set _Z13matMultKerneliPdS_S_.uses_flat_scratch, 0
	.set _Z13matMultKerneliPdS_S_.has_dyn_sized_stack, 0
	.set _Z13matMultKerneliPdS_S_.has_recursion, 0
	.set _Z13matMultKerneliPdS_S_.has_indirect_call, 0
	.section	.AMDGPU.csdata,"",@progbits
; Kernel info:
; codeLenInByte = 332
; TotalNumSgprs: 9
; NumVgprs: 12
; ScratchSize: 0
; MemoryBound: 0
; FloatMode: 240
; IeeeMode: 1
; LDSByteSize: 0 bytes/workgroup (compile time only)
; SGPRBlocks: 0
; VGPRBlocks: 0
; NumSGPRsForWavesPerEU: 9
; NumVGPRsForWavesPerEU: 12
; NamedBarCnt: 0
; Occupancy: 16
; WaveLimiterHint : 0
; COMPUTE_PGM_RSRC2:SCRATCH_EN: 0
; COMPUTE_PGM_RSRC2:USER_SGPR: 2
; COMPUTE_PGM_RSRC2:TRAP_HANDLER: 0
; COMPUTE_PGM_RSRC2:TGID_X_EN: 1
; COMPUTE_PGM_RSRC2:TGID_Y_EN: 1
; COMPUTE_PGM_RSRC2:TGID_Z_EN: 0
; COMPUTE_PGM_RSRC2:TIDIG_COMP_CNT: 1
	.section	.text._ZN4RAJA8internal22HipKernelLauncherFixedILi1024ENS0_8LoopDataIN4camp5tupleIJNS_4SpanINS_9Iterators16numeric_iteratorIiiPiEEiEESA_EEENS4_IJEEENS3_9resources2v13HipEJZ4mainEUliiE0_EEENS0_24HipStatementListExecutorISH_NS3_4listIJNS_9statement3ForILl1ENS_6policy3hip11hip_indexerINS_17iteration_mapping11StridedLoopILm0EEELNS_23kernel_sync_requirementE0EJNS_3hip11IndexGlobalILNS_9named_dimE0ELin1ELi0EEEEEEJNSL_ILl0ENSO_ISR_LSS_0EJNSU_ILSV_0ELi0ELin1EEEEEEJNSK_6LambdaILl0EJEEEEEEEEEEEENS0_9LoopTypesINSJ_IJvvEEES16_EEEEEEvT0_,"axG",@progbits,_ZN4RAJA8internal22HipKernelLauncherFixedILi1024ENS0_8LoopDataIN4camp5tupleIJNS_4SpanINS_9Iterators16numeric_iteratorIiiPiEEiEESA_EEENS4_IJEEENS3_9resources2v13HipEJZ4mainEUliiE0_EEENS0_24HipStatementListExecutorISH_NS3_4listIJNS_9statement3ForILl1ENS_6policy3hip11hip_indexerINS_17iteration_mapping11StridedLoopILm0EEELNS_23kernel_sync_requirementE0EJNS_3hip11IndexGlobalILNS_9named_dimE0ELin1ELi0EEEEEEJNSL_ILl0ENSO_ISR_LSS_0EJNSU_ILSV_0ELi0ELin1EEEEEEJNSK_6LambdaILl0EJEEEEEEEEEEEENS0_9LoopTypesINSJ_IJvvEEES16_EEEEEEvT0_,comdat
	.globl	_ZN4RAJA8internal22HipKernelLauncherFixedILi1024ENS0_8LoopDataIN4camp5tupleIJNS_4SpanINS_9Iterators16numeric_iteratorIiiPiEEiEESA_EEENS4_IJEEENS3_9resources2v13HipEJZ4mainEUliiE0_EEENS0_24HipStatementListExecutorISH_NS3_4listIJNS_9statement3ForILl1ENS_6policy3hip11hip_indexerINS_17iteration_mapping11StridedLoopILm0EEELNS_23kernel_sync_requirementE0EJNS_3hip11IndexGlobalILNS_9named_dimE0ELin1ELi0EEEEEEJNSL_ILl0ENSO_ISR_LSS_0EJNSU_ILSV_0ELi0ELin1EEEEEEJNSK_6LambdaILl0EJEEEEEEEEEEEENS0_9LoopTypesINSJ_IJvvEEES16_EEEEEEvT0_ ; -- Begin function _ZN4RAJA8internal22HipKernelLauncherFixedILi1024ENS0_8LoopDataIN4camp5tupleIJNS_4SpanINS_9Iterators16numeric_iteratorIiiPiEEiEESA_EEENS4_IJEEENS3_9resources2v13HipEJZ4mainEUliiE0_EEENS0_24HipStatementListExecutorISH_NS3_4listIJNS_9statement3ForILl1ENS_6policy3hip11hip_indexerINS_17iteration_mapping11StridedLoopILm0EEELNS_23kernel_sync_requirementE0EJNS_3hip11IndexGlobalILNS_9named_dimE0ELin1ELi0EEEEEEJNSL_ILl0ENSO_ISR_LSS_0EJNSU_ILSV_0ELi0ELin1EEEEEEJNSK_6LambdaILl0EJEEEEEEEEEEEENS0_9LoopTypesINSJ_IJvvEEES16_EEEEEEvT0_
	.p2align	8
	.type	_ZN4RAJA8internal22HipKernelLauncherFixedILi1024ENS0_8LoopDataIN4camp5tupleIJNS_4SpanINS_9Iterators16numeric_iteratorIiiPiEEiEESA_EEENS4_IJEEENS3_9resources2v13HipEJZ4mainEUliiE0_EEENS0_24HipStatementListExecutorISH_NS3_4listIJNS_9statement3ForILl1ENS_6policy3hip11hip_indexerINS_17iteration_mapping11StridedLoopILm0EEELNS_23kernel_sync_requirementE0EJNS_3hip11IndexGlobalILNS_9named_dimE0ELin1ELi0EEEEEEJNSL_ILl0ENSO_ISR_LSS_0EJNSU_ILSV_0ELi0ELin1EEEEEEJNSK_6LambdaILl0EJEEEEEEEEEEEENS0_9LoopTypesINSJ_IJvvEEES16_EEEEEEvT0_,@function
_ZN4RAJA8internal22HipKernelLauncherFixedILi1024ENS0_8LoopDataIN4camp5tupleIJNS_4SpanINS_9Iterators16numeric_iteratorIiiPiEEiEESA_EEENS4_IJEEENS3_9resources2v13HipEJZ4mainEUliiE0_EEENS0_24HipStatementListExecutorISH_NS3_4listIJNS_9statement3ForILl1ENS_6policy3hip11hip_indexerINS_17iteration_mapping11StridedLoopILm0EEELNS_23kernel_sync_requirementE0EJNS_3hip11IndexGlobalILNS_9named_dimE0ELin1ELi0EEEEEEJNSL_ILl0ENSO_ISR_LSS_0EJNSU_ILSV_0ELi0ELin1EEEEEEJNSK_6LambdaILl0EJEEEEEEEEEEEENS0_9LoopTypesINSJ_IJvvEEES16_EEEEEEvT0_: ; @_ZN4RAJA8internal22HipKernelLauncherFixedILi1024ENS0_8LoopDataIN4camp5tupleIJNS_4SpanINS_9Iterators16numeric_iteratorIiiPiEEiEESA_EEENS4_IJEEENS3_9resources2v13HipEJZ4mainEUliiE0_EEENS0_24HipStatementListExecutorISH_NS3_4listIJNS_9statement3ForILl1ENS_6policy3hip11hip_indexerINS_17iteration_mapping11StridedLoopILm0EEELNS_23kernel_sync_requirementE0EJNS_3hip11IndexGlobalILNS_9named_dimE0ELin1ELi0EEEEEEJNSL_ILl0ENSO_ISR_LSS_0EJNSU_ILSV_0ELi0ELin1EEEEEEJNSK_6LambdaILl0EJEEEEEEEEEEEENS0_9LoopTypesINSJ_IJvvEEES16_EEEEEEvT0_
; %bb.0:
	s_load_b64 s[2:3], s[0:1], 0x8
	s_bfe_u32 s4, ttmp6, 0x4000c
	s_and_b32 s5, ttmp6, 15
	s_add_co_i32 s4, s4, 1
	s_getreg_b32 s6, hwreg(HW_REG_IB_STS2, 6, 4)
	s_mul_i32 s4, ttmp9, s4
	s_delay_alu instid0(SALU_CYCLE_1)
	s_add_co_i32 s5, s5, s4
	s_wait_kmcnt 0x0
	s_sub_co_i32 s3, s3, s2
	s_cmp_eq_u32 s6, 0
	s_cselect_b32 s33, ttmp9, s5
	s_mov_b32 s5, 0
	s_cmp_ge_i32 s33, s3
	s_cbranch_scc1 .LBB1_8
; %bb.1:
	s_clause 0x2
	s_load_b64 s[8:9], s[0:1], 0x0
	s_load_b32 s40, s[0:1], 0x110
	s_load_b64 s[10:11], s[0:1], 0x28
	v_mov_b32_e32 v3, 0
	s_add_nc_u64 s[6:7], s[0:1], 0x110
	s_clause 0x1
	s_load_b128 s[36:39], s[0:1], 0x88
	s_load_b64 s[12:13], s[0:1], 0xb8
	s_wait_kmcnt 0x0
	s_sub_co_i32 s9, s9, s8
	s_cmp_lt_u32 s33, s40
	v_add_nc_u32_e32 v4, s8, v0
	s_cselect_b32 s4, 12, 18
	v_cmp_gt_i32_e32 vcc_lo, s9, v0
	s_add_nc_u64 s[4:5], s[6:7], s[4:5]
	s_mul_u64 s[14:15], s[36:37], 24
	global_load_u16 v1, v3, s[4:5]
	v_ashrrev_i32_e32 v5, 31, v4
	s_clause 0x2
	s_load_b128 s[44:47], s[0:1], 0x40
	s_load_b64 s[22:23], s[0:1], 0x70
	s_load_b128 s[4:7], s[0:1], 0xd0
	s_lshl_b64 s[18:19], s[36:37], 5
	s_lshl_b64 s[26:27], s[36:37], 4
	;; [unrolled: 1-line block ×3, first 2 shown]
	v_mul_u64_e32 v[4:5], s[38:39], v[4:5]
	s_wait_kmcnt 0x0
	s_mul_u64 s[16:17], s[46:47], 24
	s_lshl_b64 s[20:21], s[44:45], 3
	s_lshl_b64 s[24:25], s[46:47], 5
	s_lshl_b64 s[28:29], s[46:47], 4
	s_lshl_b64 s[34:35], s[46:47], 3
	s_delay_alu instid0(VALU_DEP_1) | instskip(SKIP_3) | instid1(VALU_DEP_1)
	v_lshl_add_u64 v[4:5], v[4:5], 3, s[22:23]
	s_add_co_i32 s22, s2, s33
	s_wait_loadcnt 0x0
	v_and_b32_e32 v2, 0xffff, v1
	v_mul_u64_e32 v[6:7], s[38:39], v[2:3]
	s_delay_alu instid0(VALU_DEP_1)
	v_lshlrev_b64_e32 v[6:7], 3, v[6:7]
	s_branch .LBB1_3
.LBB1_2:                                ;   in Loop: Header=BB1_3 Depth=1
	s_or_b32 exec_lo, exec_lo, s41
	s_add_co_i32 s33, s33, s40
	s_add_co_i32 s22, s22, s40
	s_cmp_lt_i32 s33, s3
	s_cbranch_scc0 .LBB1_8
.LBB1_3:                                ; =>This Loop Header: Depth=1
                                        ;     Child Loop BB1_5 Depth 2
                                        ;       Child Loop BB1_6 Depth 3
	s_and_saveexec_b32 s41, vcc_lo
	s_cbranch_execz .LBB1_2
; %bb.4:                                ;   in Loop: Header=BB1_3 Depth=1
	s_add_co_i32 s0, s33, s2
	v_mov_b64_e32 v[8:9], v[4:5]
	s_ashr_i32 s1, s0, 31
	s_ashr_i32 s23, s22, 31
	s_mul_u64 s[0:1], s[4:5], s[0:1]
	v_mov_b32_e32 v1, v0
	s_mul_u64 s[36:37], s[20:21], s[22:23]
	s_lshl_b64 s[0:1], s[0:1], 3
	s_add_nc_u64 s[36:37], s[10:11], s[36:37]
	s_add_nc_u64 s[38:39], s[12:13], s[0:1]
	s_mov_b32 s23, 0
.LBB1_5:                                ;   Parent Loop BB1_3 Depth=1
                                        ; =>  This Loop Header: Depth=2
                                        ;       Child Loop BB1_6 Depth 3
	v_mov_b64_e32 v[10:11], 0
	v_mov_b64_e32 v[12:13], v[8:9]
	s_movk_i32 s42, 0x3e8
	s_mov_b64 s[0:1], s[36:37]
.LBB1_6:                                ;   Parent Loop BB1_3 Depth=1
                                        ;     Parent Loop BB1_5 Depth=2
                                        ; =>    This Inner Loop Header: Depth=3
	global_load_b64 v[14:15], v3, s[0:1]
	global_load_b64 v[16:17], v[12:13], off
	s_wait_xcnt 0x2
	v_add_nc_u64_e32 v[18:19], s[30:31], v[12:13]
	s_add_nc_u64 s[44:45], s[0:1], s[34:35]
	s_add_co_i32 s42, s42, -4
	global_load_b64 v[20:21], v3, s[44:45]
	global_load_b64 v[22:23], v[18:19], off
	s_wait_xcnt 0x0
	v_add_nc_u64_e32 v[18:19], s[26:27], v[12:13]
	s_add_nc_u64 s[44:45], s[0:1], s[28:29]
	s_cmp_lg_u32 s42, 0
	global_load_b64 v[24:25], v3, s[44:45]
	global_load_b64 v[26:27], v[18:19], off
	s_wait_xcnt 0x0
	v_add_nc_u64_e32 v[18:19], s[14:15], v[12:13]
	s_add_nc_u64 s[44:45], s[0:1], s[16:17]
	v_add_nc_u64_e32 v[12:13], s[18:19], v[12:13]
	global_load_b64 v[28:29], v3, s[44:45]
	global_load_b64 v[30:31], v[18:19], off
	s_add_nc_u64 s[0:1], s[0:1], s[24:25]
	s_wait_loadcnt 0x6
	v_fmac_f64_e32 v[10:11], v[14:15], v[16:17]
	s_wait_loadcnt 0x4
	s_delay_alu instid0(VALU_DEP_1) | instskip(SKIP_1) | instid1(VALU_DEP_1)
	v_fmac_f64_e32 v[10:11], v[20:21], v[22:23]
	s_wait_loadcnt 0x2
	v_fmac_f64_e32 v[10:11], v[24:25], v[26:27]
	s_wait_loadcnt 0x0
	s_delay_alu instid0(VALU_DEP_1)
	v_fmac_f64_e32 v[10:11], v[28:29], v[30:31]
	s_cbranch_scc1 .LBB1_6
; %bb.7:                                ;   in Loop: Header=BB1_5 Depth=2
	v_dual_add_nc_u32 v12, s8, v1 :: v_dual_add_nc_u32 v1, v1, v2
	v_add_nc_u64_e32 v[8:9], v[8:9], v[6:7]
	s_delay_alu instid0(VALU_DEP_2) | instskip(NEXT) | instid1(VALU_DEP_3)
	v_ashrrev_i32_e32 v13, 31, v12
	v_cmp_le_i32_e64 s0, s9, v1
	s_delay_alu instid0(VALU_DEP_2) | instskip(SKIP_1) | instid1(VALU_DEP_1)
	v_mul_u64_e32 v[12:13], s[6:7], v[12:13]
	s_or_b32 s23, s0, s23
	v_lshl_add_u64 v[12:13], v[12:13], 3, s[38:39]
	global_store_b64 v[12:13], v[10:11], off
	s_wait_xcnt 0x0
	s_and_not1_b32 exec_lo, exec_lo, s23
	s_cbranch_execnz .LBB1_5
	s_branch .LBB1_2
.LBB1_8:
	s_endpgm
	.section	.rodata,"a",@progbits
	.p2align	6, 0x0
	.amdhsa_kernel _ZN4RAJA8internal22HipKernelLauncherFixedILi1024ENS0_8LoopDataIN4camp5tupleIJNS_4SpanINS_9Iterators16numeric_iteratorIiiPiEEiEESA_EEENS4_IJEEENS3_9resources2v13HipEJZ4mainEUliiE0_EEENS0_24HipStatementListExecutorISH_NS3_4listIJNS_9statement3ForILl1ENS_6policy3hip11hip_indexerINS_17iteration_mapping11StridedLoopILm0EEELNS_23kernel_sync_requirementE0EJNS_3hip11IndexGlobalILNS_9named_dimE0ELin1ELi0EEEEEEJNSL_ILl0ENSO_ISR_LSS_0EJNSU_ILSV_0ELi0ELin1EEEEEEJNSK_6LambdaILl0EJEEEEEEEEEEEENS0_9LoopTypesINSJ_IJvvEEES16_EEEEEEvT0_
		.amdhsa_group_segment_fixed_size 0
		.amdhsa_private_segment_fixed_size 0
		.amdhsa_kernarg_size 528
		.amdhsa_user_sgpr_count 2
		.amdhsa_user_sgpr_dispatch_ptr 0
		.amdhsa_user_sgpr_queue_ptr 0
		.amdhsa_user_sgpr_kernarg_segment_ptr 1
		.amdhsa_user_sgpr_dispatch_id 0
		.amdhsa_user_sgpr_kernarg_preload_length 0
		.amdhsa_user_sgpr_kernarg_preload_offset 0
		.amdhsa_user_sgpr_private_segment_size 0
		.amdhsa_wavefront_size32 1
		.amdhsa_uses_dynamic_stack 0
		.amdhsa_enable_private_segment 0
		.amdhsa_system_sgpr_workgroup_id_x 1
		.amdhsa_system_sgpr_workgroup_id_y 0
		.amdhsa_system_sgpr_workgroup_id_z 0
		.amdhsa_system_sgpr_workgroup_info 0
		.amdhsa_system_vgpr_workitem_id 0
		.amdhsa_next_free_vgpr 32
		.amdhsa_next_free_sgpr 48
		.amdhsa_named_barrier_count 0
		.amdhsa_reserve_vcc 1
		.amdhsa_float_round_mode_32 0
		.amdhsa_float_round_mode_16_64 0
		.amdhsa_float_denorm_mode_32 3
		.amdhsa_float_denorm_mode_16_64 3
		.amdhsa_fp16_overflow 0
		.amdhsa_memory_ordered 1
		.amdhsa_forward_progress 1
		.amdhsa_inst_pref_size 6
		.amdhsa_round_robin_scheduling 0
		.amdhsa_exception_fp_ieee_invalid_op 0
		.amdhsa_exception_fp_denorm_src 0
		.amdhsa_exception_fp_ieee_div_zero 0
		.amdhsa_exception_fp_ieee_overflow 0
		.amdhsa_exception_fp_ieee_underflow 0
		.amdhsa_exception_fp_ieee_inexact 0
		.amdhsa_exception_int_div_zero 0
	.end_amdhsa_kernel
	.section	.text._ZN4RAJA8internal22HipKernelLauncherFixedILi1024ENS0_8LoopDataIN4camp5tupleIJNS_4SpanINS_9Iterators16numeric_iteratorIiiPiEEiEESA_EEENS4_IJEEENS3_9resources2v13HipEJZ4mainEUliiE0_EEENS0_24HipStatementListExecutorISH_NS3_4listIJNS_9statement3ForILl1ENS_6policy3hip11hip_indexerINS_17iteration_mapping11StridedLoopILm0EEELNS_23kernel_sync_requirementE0EJNS_3hip11IndexGlobalILNS_9named_dimE0ELin1ELi0EEEEEEJNSL_ILl0ENSO_ISR_LSS_0EJNSU_ILSV_0ELi0ELin1EEEEEEJNSK_6LambdaILl0EJEEEEEEEEEEEENS0_9LoopTypesINSJ_IJvvEEES16_EEEEEEvT0_,"axG",@progbits,_ZN4RAJA8internal22HipKernelLauncherFixedILi1024ENS0_8LoopDataIN4camp5tupleIJNS_4SpanINS_9Iterators16numeric_iteratorIiiPiEEiEESA_EEENS4_IJEEENS3_9resources2v13HipEJZ4mainEUliiE0_EEENS0_24HipStatementListExecutorISH_NS3_4listIJNS_9statement3ForILl1ENS_6policy3hip11hip_indexerINS_17iteration_mapping11StridedLoopILm0EEELNS_23kernel_sync_requirementE0EJNS_3hip11IndexGlobalILNS_9named_dimE0ELin1ELi0EEEEEEJNSL_ILl0ENSO_ISR_LSS_0EJNSU_ILSV_0ELi0ELin1EEEEEEJNSK_6LambdaILl0EJEEEEEEEEEEEENS0_9LoopTypesINSJ_IJvvEEES16_EEEEEEvT0_,comdat
.Lfunc_end1:
	.size	_ZN4RAJA8internal22HipKernelLauncherFixedILi1024ENS0_8LoopDataIN4camp5tupleIJNS_4SpanINS_9Iterators16numeric_iteratorIiiPiEEiEESA_EEENS4_IJEEENS3_9resources2v13HipEJZ4mainEUliiE0_EEENS0_24HipStatementListExecutorISH_NS3_4listIJNS_9statement3ForILl1ENS_6policy3hip11hip_indexerINS_17iteration_mapping11StridedLoopILm0EEELNS_23kernel_sync_requirementE0EJNS_3hip11IndexGlobalILNS_9named_dimE0ELin1ELi0EEEEEEJNSL_ILl0ENSO_ISR_LSS_0EJNSU_ILSV_0ELi0ELin1EEEEEEJNSK_6LambdaILl0EJEEEEEEEEEEEENS0_9LoopTypesINSJ_IJvvEEES16_EEEEEEvT0_, .Lfunc_end1-_ZN4RAJA8internal22HipKernelLauncherFixedILi1024ENS0_8LoopDataIN4camp5tupleIJNS_4SpanINS_9Iterators16numeric_iteratorIiiPiEEiEESA_EEENS4_IJEEENS3_9resources2v13HipEJZ4mainEUliiE0_EEENS0_24HipStatementListExecutorISH_NS3_4listIJNS_9statement3ForILl1ENS_6policy3hip11hip_indexerINS_17iteration_mapping11StridedLoopILm0EEELNS_23kernel_sync_requirementE0EJNS_3hip11IndexGlobalILNS_9named_dimE0ELin1ELi0EEEEEEJNSL_ILl0ENSO_ISR_LSS_0EJNSU_ILSV_0ELi0ELin1EEEEEEJNSK_6LambdaILl0EJEEEEEEEEEEEENS0_9LoopTypesINSJ_IJvvEEES16_EEEEEEvT0_
                                        ; -- End function
	.set _ZN4RAJA8internal22HipKernelLauncherFixedILi1024ENS0_8LoopDataIN4camp5tupleIJNS_4SpanINS_9Iterators16numeric_iteratorIiiPiEEiEESA_EEENS4_IJEEENS3_9resources2v13HipEJZ4mainEUliiE0_EEENS0_24HipStatementListExecutorISH_NS3_4listIJNS_9statement3ForILl1ENS_6policy3hip11hip_indexerINS_17iteration_mapping11StridedLoopILm0EEELNS_23kernel_sync_requirementE0EJNS_3hip11IndexGlobalILNS_9named_dimE0ELin1ELi0EEEEEEJNSL_ILl0ENSO_ISR_LSS_0EJNSU_ILSV_0ELi0ELin1EEEEEEJNSK_6LambdaILl0EJEEEEEEEEEEEENS0_9LoopTypesINSJ_IJvvEEES16_EEEEEEvT0_.num_vgpr, 32
	.set _ZN4RAJA8internal22HipKernelLauncherFixedILi1024ENS0_8LoopDataIN4camp5tupleIJNS_4SpanINS_9Iterators16numeric_iteratorIiiPiEEiEESA_EEENS4_IJEEENS3_9resources2v13HipEJZ4mainEUliiE0_EEENS0_24HipStatementListExecutorISH_NS3_4listIJNS_9statement3ForILl1ENS_6policy3hip11hip_indexerINS_17iteration_mapping11StridedLoopILm0EEELNS_23kernel_sync_requirementE0EJNS_3hip11IndexGlobalILNS_9named_dimE0ELin1ELi0EEEEEEJNSL_ILl0ENSO_ISR_LSS_0EJNSU_ILSV_0ELi0ELin1EEEEEEJNSK_6LambdaILl0EJEEEEEEEEEEEENS0_9LoopTypesINSJ_IJvvEEES16_EEEEEEvT0_.num_agpr, 0
	.set _ZN4RAJA8internal22HipKernelLauncherFixedILi1024ENS0_8LoopDataIN4camp5tupleIJNS_4SpanINS_9Iterators16numeric_iteratorIiiPiEEiEESA_EEENS4_IJEEENS3_9resources2v13HipEJZ4mainEUliiE0_EEENS0_24HipStatementListExecutorISH_NS3_4listIJNS_9statement3ForILl1ENS_6policy3hip11hip_indexerINS_17iteration_mapping11StridedLoopILm0EEELNS_23kernel_sync_requirementE0EJNS_3hip11IndexGlobalILNS_9named_dimE0ELin1ELi0EEEEEEJNSL_ILl0ENSO_ISR_LSS_0EJNSU_ILSV_0ELi0ELin1EEEEEEJNSK_6LambdaILl0EJEEEEEEEEEEEENS0_9LoopTypesINSJ_IJvvEEES16_EEEEEEvT0_.numbered_sgpr, 48
	.set _ZN4RAJA8internal22HipKernelLauncherFixedILi1024ENS0_8LoopDataIN4camp5tupleIJNS_4SpanINS_9Iterators16numeric_iteratorIiiPiEEiEESA_EEENS4_IJEEENS3_9resources2v13HipEJZ4mainEUliiE0_EEENS0_24HipStatementListExecutorISH_NS3_4listIJNS_9statement3ForILl1ENS_6policy3hip11hip_indexerINS_17iteration_mapping11StridedLoopILm0EEELNS_23kernel_sync_requirementE0EJNS_3hip11IndexGlobalILNS_9named_dimE0ELin1ELi0EEEEEEJNSL_ILl0ENSO_ISR_LSS_0EJNSU_ILSV_0ELi0ELin1EEEEEEJNSK_6LambdaILl0EJEEEEEEEEEEEENS0_9LoopTypesINSJ_IJvvEEES16_EEEEEEvT0_.num_named_barrier, 0
	.set _ZN4RAJA8internal22HipKernelLauncherFixedILi1024ENS0_8LoopDataIN4camp5tupleIJNS_4SpanINS_9Iterators16numeric_iteratorIiiPiEEiEESA_EEENS4_IJEEENS3_9resources2v13HipEJZ4mainEUliiE0_EEENS0_24HipStatementListExecutorISH_NS3_4listIJNS_9statement3ForILl1ENS_6policy3hip11hip_indexerINS_17iteration_mapping11StridedLoopILm0EEELNS_23kernel_sync_requirementE0EJNS_3hip11IndexGlobalILNS_9named_dimE0ELin1ELi0EEEEEEJNSL_ILl0ENSO_ISR_LSS_0EJNSU_ILSV_0ELi0ELin1EEEEEEJNSK_6LambdaILl0EJEEEEEEEEEEEENS0_9LoopTypesINSJ_IJvvEEES16_EEEEEEvT0_.private_seg_size, 0
	.set _ZN4RAJA8internal22HipKernelLauncherFixedILi1024ENS0_8LoopDataIN4camp5tupleIJNS_4SpanINS_9Iterators16numeric_iteratorIiiPiEEiEESA_EEENS4_IJEEENS3_9resources2v13HipEJZ4mainEUliiE0_EEENS0_24HipStatementListExecutorISH_NS3_4listIJNS_9statement3ForILl1ENS_6policy3hip11hip_indexerINS_17iteration_mapping11StridedLoopILm0EEELNS_23kernel_sync_requirementE0EJNS_3hip11IndexGlobalILNS_9named_dimE0ELin1ELi0EEEEEEJNSL_ILl0ENSO_ISR_LSS_0EJNSU_ILSV_0ELi0ELin1EEEEEEJNSK_6LambdaILl0EJEEEEEEEEEEEENS0_9LoopTypesINSJ_IJvvEEES16_EEEEEEvT0_.uses_vcc, 1
	.set _ZN4RAJA8internal22HipKernelLauncherFixedILi1024ENS0_8LoopDataIN4camp5tupleIJNS_4SpanINS_9Iterators16numeric_iteratorIiiPiEEiEESA_EEENS4_IJEEENS3_9resources2v13HipEJZ4mainEUliiE0_EEENS0_24HipStatementListExecutorISH_NS3_4listIJNS_9statement3ForILl1ENS_6policy3hip11hip_indexerINS_17iteration_mapping11StridedLoopILm0EEELNS_23kernel_sync_requirementE0EJNS_3hip11IndexGlobalILNS_9named_dimE0ELin1ELi0EEEEEEJNSL_ILl0ENSO_ISR_LSS_0EJNSU_ILSV_0ELi0ELin1EEEEEEJNSK_6LambdaILl0EJEEEEEEEEEEEENS0_9LoopTypesINSJ_IJvvEEES16_EEEEEEvT0_.uses_flat_scratch, 0
	.set _ZN4RAJA8internal22HipKernelLauncherFixedILi1024ENS0_8LoopDataIN4camp5tupleIJNS_4SpanINS_9Iterators16numeric_iteratorIiiPiEEiEESA_EEENS4_IJEEENS3_9resources2v13HipEJZ4mainEUliiE0_EEENS0_24HipStatementListExecutorISH_NS3_4listIJNS_9statement3ForILl1ENS_6policy3hip11hip_indexerINS_17iteration_mapping11StridedLoopILm0EEELNS_23kernel_sync_requirementE0EJNS_3hip11IndexGlobalILNS_9named_dimE0ELin1ELi0EEEEEEJNSL_ILl0ENSO_ISR_LSS_0EJNSU_ILSV_0ELi0ELin1EEEEEEJNSK_6LambdaILl0EJEEEEEEEEEEEENS0_9LoopTypesINSJ_IJvvEEES16_EEEEEEvT0_.has_dyn_sized_stack, 0
	.set _ZN4RAJA8internal22HipKernelLauncherFixedILi1024ENS0_8LoopDataIN4camp5tupleIJNS_4SpanINS_9Iterators16numeric_iteratorIiiPiEEiEESA_EEENS4_IJEEENS3_9resources2v13HipEJZ4mainEUliiE0_EEENS0_24HipStatementListExecutorISH_NS3_4listIJNS_9statement3ForILl1ENS_6policy3hip11hip_indexerINS_17iteration_mapping11StridedLoopILm0EEELNS_23kernel_sync_requirementE0EJNS_3hip11IndexGlobalILNS_9named_dimE0ELin1ELi0EEEEEEJNSL_ILl0ENSO_ISR_LSS_0EJNSU_ILSV_0ELi0ELin1EEEEEEJNSK_6LambdaILl0EJEEEEEEEEEEEENS0_9LoopTypesINSJ_IJvvEEES16_EEEEEEvT0_.has_recursion, 0
	.set _ZN4RAJA8internal22HipKernelLauncherFixedILi1024ENS0_8LoopDataIN4camp5tupleIJNS_4SpanINS_9Iterators16numeric_iteratorIiiPiEEiEESA_EEENS4_IJEEENS3_9resources2v13HipEJZ4mainEUliiE0_EEENS0_24HipStatementListExecutorISH_NS3_4listIJNS_9statement3ForILl1ENS_6policy3hip11hip_indexerINS_17iteration_mapping11StridedLoopILm0EEELNS_23kernel_sync_requirementE0EJNS_3hip11IndexGlobalILNS_9named_dimE0ELin1ELi0EEEEEEJNSL_ILl0ENSO_ISR_LSS_0EJNSU_ILSV_0ELi0ELin1EEEEEEJNSK_6LambdaILl0EJEEEEEEEEEEEENS0_9LoopTypesINSJ_IJvvEEES16_EEEEEEvT0_.has_indirect_call, 0
	.section	.AMDGPU.csdata,"",@progbits
; Kernel info:
; codeLenInByte = 652
; TotalNumSgprs: 50
; NumVgprs: 32
; ScratchSize: 0
; MemoryBound: 1
; FloatMode: 240
; IeeeMode: 1
; LDSByteSize: 0 bytes/workgroup (compile time only)
; SGPRBlocks: 0
; VGPRBlocks: 1
; NumSGPRsForWavesPerEU: 50
; NumVGPRsForWavesPerEU: 32
; NamedBarCnt: 0
; Occupancy: 16
; WaveLimiterHint : 0
; COMPUTE_PGM_RSRC2:SCRATCH_EN: 0
; COMPUTE_PGM_RSRC2:USER_SGPR: 2
; COMPUTE_PGM_RSRC2:TRAP_HANDLER: 0
; COMPUTE_PGM_RSRC2:TGID_X_EN: 1
; COMPUTE_PGM_RSRC2:TGID_Y_EN: 0
; COMPUTE_PGM_RSRC2:TGID_Z_EN: 0
; COMPUTE_PGM_RSRC2:TIDIG_COMP_CNT: 0
	.section	.text._ZN4RAJA8internal22HipKernelLauncherFixedILi1024ENS0_8LoopDataIN4camp5tupleIJNS_4SpanINS_9Iterators16numeric_iteratorIiiPiEEiEESA_EEENS4_IJEEENS3_9resources2v13HipEJZ4mainEUliiE1_EEENS0_24HipStatementListExecutorISH_NS3_4listIJNS_9statement4TileILl1ENS_10tile_fixedILl16EEENS_6policy3hip11hip_indexerINS_17iteration_mapping11StridedLoopILm0EEELNS_23kernel_sync_requirementE0EJNS_3hip11IndexGlobalILNS_9named_dimE1ELin1ELi0EEEEEEJNSL_ILl0ESN_NSQ_IST_LSU_0EJNSW_ILSX_0ELin1ELi0EEEEEEJNSK_3ForILl1ENSQ_IST_LSU_0EJNSW_ILSX_1ELi0ELin1EEEEEEJNS12_ILl0ENSQ_IST_LSU_0EJNSW_ILSX_0ELi0ELin1EEEEEEJNSK_6LambdaILl0EJEEEEEEEEEEEEEEEEEENS0_9LoopTypesINSJ_IJvvEEES1F_EEEEEEvT0_,"axG",@progbits,_ZN4RAJA8internal22HipKernelLauncherFixedILi1024ENS0_8LoopDataIN4camp5tupleIJNS_4SpanINS_9Iterators16numeric_iteratorIiiPiEEiEESA_EEENS4_IJEEENS3_9resources2v13HipEJZ4mainEUliiE1_EEENS0_24HipStatementListExecutorISH_NS3_4listIJNS_9statement4TileILl1ENS_10tile_fixedILl16EEENS_6policy3hip11hip_indexerINS_17iteration_mapping11StridedLoopILm0EEELNS_23kernel_sync_requirementE0EJNS_3hip11IndexGlobalILNS_9named_dimE1ELin1ELi0EEEEEEJNSL_ILl0ESN_NSQ_IST_LSU_0EJNSW_ILSX_0ELin1ELi0EEEEEEJNSK_3ForILl1ENSQ_IST_LSU_0EJNSW_ILSX_1ELi0ELin1EEEEEEJNS12_ILl0ENSQ_IST_LSU_0EJNSW_ILSX_0ELi0ELin1EEEEEEJNSK_6LambdaILl0EJEEEEEEEEEEEEEEEEEENS0_9LoopTypesINSJ_IJvvEEES1F_EEEEEEvT0_,comdat
	.globl	_ZN4RAJA8internal22HipKernelLauncherFixedILi1024ENS0_8LoopDataIN4camp5tupleIJNS_4SpanINS_9Iterators16numeric_iteratorIiiPiEEiEESA_EEENS4_IJEEENS3_9resources2v13HipEJZ4mainEUliiE1_EEENS0_24HipStatementListExecutorISH_NS3_4listIJNS_9statement4TileILl1ENS_10tile_fixedILl16EEENS_6policy3hip11hip_indexerINS_17iteration_mapping11StridedLoopILm0EEELNS_23kernel_sync_requirementE0EJNS_3hip11IndexGlobalILNS_9named_dimE1ELin1ELi0EEEEEEJNSL_ILl0ESN_NSQ_IST_LSU_0EJNSW_ILSX_0ELin1ELi0EEEEEEJNSK_3ForILl1ENSQ_IST_LSU_0EJNSW_ILSX_1ELi0ELin1EEEEEEJNS12_ILl0ENSQ_IST_LSU_0EJNSW_ILSX_0ELi0ELin1EEEEEEJNSK_6LambdaILl0EJEEEEEEEEEEEEEEEEEENS0_9LoopTypesINSJ_IJvvEEES1F_EEEEEEvT0_ ; -- Begin function _ZN4RAJA8internal22HipKernelLauncherFixedILi1024ENS0_8LoopDataIN4camp5tupleIJNS_4SpanINS_9Iterators16numeric_iteratorIiiPiEEiEESA_EEENS4_IJEEENS3_9resources2v13HipEJZ4mainEUliiE1_EEENS0_24HipStatementListExecutorISH_NS3_4listIJNS_9statement4TileILl1ENS_10tile_fixedILl16EEENS_6policy3hip11hip_indexerINS_17iteration_mapping11StridedLoopILm0EEELNS_23kernel_sync_requirementE0EJNS_3hip11IndexGlobalILNS_9named_dimE1ELin1ELi0EEEEEEJNSL_ILl0ESN_NSQ_IST_LSU_0EJNSW_ILSX_0ELin1ELi0EEEEEEJNSK_3ForILl1ENSQ_IST_LSU_0EJNSW_ILSX_1ELi0ELin1EEEEEEJNS12_ILl0ENSQ_IST_LSU_0EJNSW_ILSX_0ELi0ELin1EEEEEEJNSK_6LambdaILl0EJEEEEEEEEEEEEEEEEEENS0_9LoopTypesINSJ_IJvvEEES1F_EEEEEEvT0_
	.p2align	8
	.type	_ZN4RAJA8internal22HipKernelLauncherFixedILi1024ENS0_8LoopDataIN4camp5tupleIJNS_4SpanINS_9Iterators16numeric_iteratorIiiPiEEiEESA_EEENS4_IJEEENS3_9resources2v13HipEJZ4mainEUliiE1_EEENS0_24HipStatementListExecutorISH_NS3_4listIJNS_9statement4TileILl1ENS_10tile_fixedILl16EEENS_6policy3hip11hip_indexerINS_17iteration_mapping11StridedLoopILm0EEELNS_23kernel_sync_requirementE0EJNS_3hip11IndexGlobalILNS_9named_dimE1ELin1ELi0EEEEEEJNSL_ILl0ESN_NSQ_IST_LSU_0EJNSW_ILSX_0ELin1ELi0EEEEEEJNSK_3ForILl1ENSQ_IST_LSU_0EJNSW_ILSX_1ELi0ELin1EEEEEEJNS12_ILl0ENSQ_IST_LSU_0EJNSW_ILSX_0ELi0ELin1EEEEEEJNSK_6LambdaILl0EJEEEEEEEEEEEEEEEEEENS0_9LoopTypesINSJ_IJvvEEES1F_EEEEEEvT0_,@function
_ZN4RAJA8internal22HipKernelLauncherFixedILi1024ENS0_8LoopDataIN4camp5tupleIJNS_4SpanINS_9Iterators16numeric_iteratorIiiPiEEiEESA_EEENS4_IJEEENS3_9resources2v13HipEJZ4mainEUliiE1_EEENS0_24HipStatementListExecutorISH_NS3_4listIJNS_9statement4TileILl1ENS_10tile_fixedILl16EEENS_6policy3hip11hip_indexerINS_17iteration_mapping11StridedLoopILm0EEELNS_23kernel_sync_requirementE0EJNS_3hip11IndexGlobalILNS_9named_dimE1ELin1ELi0EEEEEEJNSL_ILl0ESN_NSQ_IST_LSU_0EJNSW_ILSX_0ELin1ELi0EEEEEEJNSK_3ForILl1ENSQ_IST_LSU_0EJNSW_ILSX_1ELi0ELin1EEEEEEJNS12_ILl0ENSQ_IST_LSU_0EJNSW_ILSX_0ELi0ELin1EEEEEEJNSK_6LambdaILl0EJEEEEEEEEEEEEEEEEEENS0_9LoopTypesINSJ_IJvvEEES1F_EEEEEEvT0_: ; @_ZN4RAJA8internal22HipKernelLauncherFixedILi1024ENS0_8LoopDataIN4camp5tupleIJNS_4SpanINS_9Iterators16numeric_iteratorIiiPiEEiEESA_EEENS4_IJEEENS3_9resources2v13HipEJZ4mainEUliiE1_EEENS0_24HipStatementListExecutorISH_NS3_4listIJNS_9statement4TileILl1ENS_10tile_fixedILl16EEENS_6policy3hip11hip_indexerINS_17iteration_mapping11StridedLoopILm0EEELNS_23kernel_sync_requirementE0EJNS_3hip11IndexGlobalILNS_9named_dimE1ELin1ELi0EEEEEEJNSL_ILl0ESN_NSQ_IST_LSU_0EJNSW_ILSX_0ELin1ELi0EEEEEEJNSK_3ForILl1ENSQ_IST_LSU_0EJNSW_ILSX_1ELi0ELin1EEEEEEJNS12_ILl0ENSQ_IST_LSU_0EJNSW_ILSX_0ELi0ELin1EEEEEEJNSK_6LambdaILl0EJEEEEEEEEEEEEEEEEEENS0_9LoopTypesINSJ_IJvvEEES1F_EEEEEEvT0_
; %bb.0:
	s_load_b64 s[2:3], s[0:1], 0x8
	s_bfe_u32 s4, ttmp6, 0x40010
	s_bfe_u32 s5, ttmp6, 0x40004
	s_add_co_i32 s4, s4, 1
	s_getreg_b32 s26, hwreg(HW_REG_IB_STS2, 6, 4)
	s_mul_i32 s4, ttmp7, s4
	s_mov_b32 s41, 0
	s_add_co_i32 s5, s5, s4
	s_wait_kmcnt 0x0
	s_sub_co_i32 s33, s3, s2
	s_cmp_eq_u32 s26, 0
	s_cselect_b32 s4, ttmp7, s5
	s_delay_alu instid0(SALU_CYCLE_1) | instskip(NEXT) | instid1(SALU_CYCLE_1)
	s_lshl_b32 s42, s4, 4
	s_cmp_ge_i32 s42, s33
	s_cbranch_scc1 .LBB2_14
; %bb.1:
	s_clause 0x7
	s_load_b64 s[28:29], s[0:1], 0x110
	s_load_b128 s[4:7], s[0:1], 0xd0
	s_load_b128 s[8:11], s[0:1], 0x88
	s_load_b64 s[16:17], s[0:1], 0x28
	s_load_b64 s[18:19], s[0:1], 0x0
	s_load_b128 s[12:15], s[0:1], 0x40
	s_load_b64 s[20:21], s[0:1], 0x70
	s_load_b64 s[22:23], s[0:1], 0xb8
	s_add_nc_u64 s[24:25], s[0:1], 0x110
	s_wait_xcnt 0x0
	s_bfe_u32 s0, ttmp6, 0x4000c
	s_and_b32 s1, ttmp6, 15
	s_add_co_i32 s0, s0, 1
	v_bfe_u32 v18, v0, 10, 10
	s_mul_i32 s0, ttmp9, s0
	v_and_b32_e32 v19, 0x3ff, v0
	s_add_co_i32 s1, s1, s0
	v_mov_b32_e32 v1, 0
	v_add3_u32 v20, s2, s42, v18
	s_wait_kmcnt 0x0
	s_lshl_b32 s43, s29, 4
	s_cmp_eq_u32 s26, 0
	s_mul_u64 s[26:27], s[8:9], 24
	s_cselect_b32 s0, ttmp9, s1
	s_lshl_b32 s44, s28, 4
	s_lshl_b32 s45, s0, 4
	s_cmp_lt_u32 s0, s28
	v_add3_u32 v21, s18, s45, v19
	s_cselect_b32 s40, 12, 18
	s_sub_co_i32 s46, s19, s18
	s_mul_u64 s[28:29], s[14:15], 24
	s_cmp_lt_i32 s45, s46
	s_add_nc_u64 s[40:41], s[24:25], s[40:41]
	s_cselect_b32 s47, -1, 0
	s_lshl_b64 s[10:11], s[10:11], 3
	s_lshl_b64 s[30:31], s[8:9], 5
	;; [unrolled: 1-line block ×8, first 2 shown]
	s_branch .LBB2_3
.LBB2_2:                                ;   in Loop: Header=BB2_3 Depth=1
	v_add_nc_u32_e32 v20, s43, v20
	s_add_co_i32 s42, s42, s43
	s_delay_alu instid0(SALU_CYCLE_1)
	s_cmp_lt_i32 s42, s33
	s_cbranch_scc0 .LBB2_14
.LBB2_3:                                ; =>This Loop Header: Depth=1
                                        ;     Child Loop BB2_6 Depth 2
                                        ;       Child Loop BB2_9 Depth 3
                                        ;         Child Loop BB2_11 Depth 4
                                        ;           Child Loop BB2_12 Depth 5
	s_and_not1_b32 vcc_lo, exec_lo, s47
	s_cbranch_vccnz .LBB2_2
; %bb.4:                                ;   in Loop: Header=BB2_3 Depth=1
	s_wait_kmcnt 0x0
	s_load_u16 s48, s[24:25], 0xe
	s_add_co_i32 s49, s42, s2
	v_mov_b32_e32 v22, v21
	s_add_co_i32 s0, s49, 16
	s_mov_b32 s51, s45
	s_min_i32 s0, s0, s3
	s_delay_alu instid0(SALU_CYCLE_1) | instskip(NEXT) | instid1(SALU_CYCLE_1)
	s_sub_co_i32 s50, s0, s49
	v_cmp_gt_i32_e32 vcc_lo, s50, v18
	s_branch .LBB2_6
.LBB2_5:                                ;   in Loop: Header=BB2_6 Depth=2
	s_or_b32 exec_lo, exec_lo, s52
	v_add_nc_u32_e32 v22, s44, v22
	s_add_co_i32 s51, s51, s44
	s_delay_alu instid0(SALU_CYCLE_1)
	s_cmp_lt_i32 s51, s46
	s_cbranch_scc0 .LBB2_2
.LBB2_6:                                ;   Parent Loop BB2_3 Depth=1
                                        ; =>  This Loop Header: Depth=2
                                        ;       Child Loop BB2_9 Depth 3
                                        ;         Child Loop BB2_11 Depth 4
                                        ;           Child Loop BB2_12 Depth 5
	s_and_saveexec_b32 s52, vcc_lo
	s_cbranch_execz .LBB2_5
; %bb.7:                                ;   in Loop: Header=BB2_6 Depth=2
	global_load_u16 v0, v1, s[40:41]
	v_mad_nc_u64_u32 v[2:3], s10, v22, s[20:21]
	v_dual_mov_b32 v23, v20 :: v_dual_ashrrev_i32 v6, 31, v22
	s_add_co_i32 s53, s51, s18
	v_mov_b32_e32 v24, v18
	s_add_co_i32 s0, s53, 16
	s_mov_b32 s55, 0
	s_min_i32 s0, s0, s19
	s_delay_alu instid0(SALU_CYCLE_1) | instskip(NEXT) | instid1(VALU_DEP_3)
	s_sub_co_i32 s54, s0, s53
	v_mad_u32 v3, s11, v22, v3
	v_cmp_gt_i32_e64 s0, s54, v19
	s_delay_alu instid0(VALU_DEP_2) | instskip(SKIP_2) | instid1(VALU_DEP_1)
	v_mad_u32 v3, s10, v6, v3
	s_wait_loadcnt 0x0
	v_and_b32_e32 v0, 0xffff, v0
	v_mul_u64_e32 v[4:5], s[10:11], v[0:1]
	s_branch .LBB2_9
.LBB2_8:                                ;   in Loop: Header=BB2_9 Depth=3
	s_or_b32 exec_lo, exec_lo, s56
	s_wait_kmcnt 0x0
	v_dual_add_nc_u32 v24, s48, v24 :: v_dual_add_nc_u32 v23, s48, v23
	s_delay_alu instid0(VALU_DEP_1) | instskip(SKIP_1) | instid1(SALU_CYCLE_1)
	v_cmp_le_i32_e64 s1, s50, v24
	s_or_b32 s55, s1, s55
	s_and_not1_b32 exec_lo, exec_lo, s55
	s_cbranch_execz .LBB2_5
.LBB2_9:                                ;   Parent Loop BB2_3 Depth=1
                                        ;     Parent Loop BB2_6 Depth=2
                                        ; =>    This Loop Header: Depth=3
                                        ;         Child Loop BB2_11 Depth 4
                                        ;           Child Loop BB2_12 Depth 5
	s_wait_xcnt 0x0
	s_and_saveexec_b32 s56, s0
	s_cbranch_execz .LBB2_8
; %bb.10:                               ;   in Loop: Header=BB2_9 Depth=3
	v_dual_add_nc_u32 v6, s49, v24 :: v_dual_ashrrev_i32 v8, 31, v23
	s_mov_b32 s57, 0
	s_delay_alu instid0(VALU_DEP_1) | instskip(NEXT) | instid1(VALU_DEP_1)
	v_dual_mov_b32 v25, v19 :: v_dual_ashrrev_i32 v7, 31, v6
	v_mul_u64_e32 v[10:11], s[4:5], v[6:7]
	v_mad_nc_u64_u32 v[6:7], s12, v23, s[16:17]
	s_delay_alu instid0(VALU_DEP_1) | instskip(NEXT) | instid1(VALU_DEP_1)
	v_mad_u32 v7, s13, v23, v7
	v_mad_u32 v7, s12, v8, v7
	v_mov_b64_e32 v[8:9], v[2:3]
	v_lshl_add_u64 v[10:11], v[10:11], 3, s[22:23]
.LBB2_11:                               ;   Parent Loop BB2_3 Depth=1
                                        ;     Parent Loop BB2_6 Depth=2
                                        ;       Parent Loop BB2_9 Depth=3
                                        ; =>      This Loop Header: Depth=4
                                        ;           Child Loop BB2_12 Depth 5
	v_mov_b64_e32 v[12:13], 0
	s_delay_alu instid0(VALU_DEP_4) | instskip(NEXT) | instid1(VALU_DEP_4)
	v_mov_b64_e32 v[14:15], v[6:7]
	v_mov_b64_e32 v[16:17], v[8:9]
	s_movk_i32 s1, 0x3e8
.LBB2_12:                               ;   Parent Loop BB2_3 Depth=1
                                        ;     Parent Loop BB2_6 Depth=2
                                        ;       Parent Loop BB2_9 Depth=3
                                        ;         Parent Loop BB2_11 Depth=4
                                        ; =>        This Inner Loop Header: Depth=5
	global_load_b64 v[26:27], v[14:15], off
	global_load_b64 v[28:29], v[16:17], off
	s_wait_xcnt 0x7
	v_add_nc_u64_e32 v[30:31], s[14:15], v[14:15]
	s_wait_xcnt 0x6
	v_add_nc_u64_e32 v[32:33], s[8:9], v[16:17]
	;; [unrolled: 2-line block ×6, first 2 shown]
	global_load_b64 v[30:31], v[30:31], off
	global_load_b64 v[32:33], v[32:33], off
	;; [unrolled: 1-line block ×6, first 2 shown]
	s_wait_xcnt 0x6
	v_add_nc_u64_e32 v[16:17], s[30:31], v[16:17]
	v_add_nc_u64_e32 v[14:15], s[34:35], v[14:15]
	s_add_co_i32 s1, s1, -4
	s_delay_alu instid0(SALU_CYCLE_1) | instskip(SKIP_3) | instid1(VALU_DEP_1)
	s_cmp_lg_u32 s1, 0
	s_wait_loadcnt 0x6
	v_fmac_f64_e32 v[12:13], v[26:27], v[28:29]
	s_wait_loadcnt 0x4
	v_fmac_f64_e32 v[12:13], v[30:31], v[32:33]
	s_wait_loadcnt 0x2
	s_delay_alu instid0(VALU_DEP_1) | instskip(SKIP_1) | instid1(VALU_DEP_1)
	v_fmac_f64_e32 v[12:13], v[34:35], v[36:37]
	s_wait_loadcnt 0x0
	v_fmac_f64_e32 v[12:13], v[38:39], v[40:41]
	s_cbranch_scc1 .LBB2_12
; %bb.13:                               ;   in Loop: Header=BB2_11 Depth=4
	v_dual_add_nc_u32 v14, s53, v25 :: v_dual_add_nc_u32 v25, v25, v0
	v_add_nc_u64_e32 v[8:9], v[8:9], v[4:5]
	s_delay_alu instid0(VALU_DEP_2) | instskip(NEXT) | instid1(VALU_DEP_3)
	v_ashrrev_i32_e32 v15, 31, v14
	v_cmp_le_i32_e64 s1, s54, v25
	s_delay_alu instid0(VALU_DEP_2) | instskip(SKIP_1) | instid1(VALU_DEP_1)
	v_mul_u64_e32 v[14:15], s[6:7], v[14:15]
	s_or_b32 s57, s1, s57
	v_lshl_add_u64 v[14:15], v[14:15], 3, v[10:11]
	global_store_b64 v[14:15], v[12:13], off
	s_wait_xcnt 0x0
	s_and_not1_b32 exec_lo, exec_lo, s57
	s_cbranch_execnz .LBB2_11
	s_branch .LBB2_8
.LBB2_14:
	s_endpgm
	.section	.rodata,"a",@progbits
	.p2align	6, 0x0
	.amdhsa_kernel _ZN4RAJA8internal22HipKernelLauncherFixedILi1024ENS0_8LoopDataIN4camp5tupleIJNS_4SpanINS_9Iterators16numeric_iteratorIiiPiEEiEESA_EEENS4_IJEEENS3_9resources2v13HipEJZ4mainEUliiE1_EEENS0_24HipStatementListExecutorISH_NS3_4listIJNS_9statement4TileILl1ENS_10tile_fixedILl16EEENS_6policy3hip11hip_indexerINS_17iteration_mapping11StridedLoopILm0EEELNS_23kernel_sync_requirementE0EJNS_3hip11IndexGlobalILNS_9named_dimE1ELin1ELi0EEEEEEJNSL_ILl0ESN_NSQ_IST_LSU_0EJNSW_ILSX_0ELin1ELi0EEEEEEJNSK_3ForILl1ENSQ_IST_LSU_0EJNSW_ILSX_1ELi0ELin1EEEEEEJNS12_ILl0ENSQ_IST_LSU_0EJNSW_ILSX_0ELi0ELin1EEEEEEJNSK_6LambdaILl0EJEEEEEEEEEEEEEEEEEENS0_9LoopTypesINSJ_IJvvEEES1F_EEEEEEvT0_
		.amdhsa_group_segment_fixed_size 0
		.amdhsa_private_segment_fixed_size 0
		.amdhsa_kernarg_size 528
		.amdhsa_user_sgpr_count 2
		.amdhsa_user_sgpr_dispatch_ptr 0
		.amdhsa_user_sgpr_queue_ptr 0
		.amdhsa_user_sgpr_kernarg_segment_ptr 1
		.amdhsa_user_sgpr_dispatch_id 0
		.amdhsa_user_sgpr_kernarg_preload_length 0
		.amdhsa_user_sgpr_kernarg_preload_offset 0
		.amdhsa_user_sgpr_private_segment_size 0
		.amdhsa_wavefront_size32 1
		.amdhsa_uses_dynamic_stack 0
		.amdhsa_enable_private_segment 0
		.amdhsa_system_sgpr_workgroup_id_x 1
		.amdhsa_system_sgpr_workgroup_id_y 1
		.amdhsa_system_sgpr_workgroup_id_z 0
		.amdhsa_system_sgpr_workgroup_info 0
		.amdhsa_system_vgpr_workitem_id 1
		.amdhsa_next_free_vgpr 42
		.amdhsa_next_free_sgpr 58
		.amdhsa_named_barrier_count 0
		.amdhsa_reserve_vcc 1
		.amdhsa_float_round_mode_32 0
		.amdhsa_float_round_mode_16_64 0
		.amdhsa_float_denorm_mode_32 3
		.amdhsa_float_denorm_mode_16_64 3
		.amdhsa_fp16_overflow 0
		.amdhsa_memory_ordered 1
		.amdhsa_forward_progress 1
		.amdhsa_inst_pref_size 8
		.amdhsa_round_robin_scheduling 0
		.amdhsa_exception_fp_ieee_invalid_op 0
		.amdhsa_exception_fp_denorm_src 0
		.amdhsa_exception_fp_ieee_div_zero 0
		.amdhsa_exception_fp_ieee_overflow 0
		.amdhsa_exception_fp_ieee_underflow 0
		.amdhsa_exception_fp_ieee_inexact 0
		.amdhsa_exception_int_div_zero 0
	.end_amdhsa_kernel
	.section	.text._ZN4RAJA8internal22HipKernelLauncherFixedILi1024ENS0_8LoopDataIN4camp5tupleIJNS_4SpanINS_9Iterators16numeric_iteratorIiiPiEEiEESA_EEENS4_IJEEENS3_9resources2v13HipEJZ4mainEUliiE1_EEENS0_24HipStatementListExecutorISH_NS3_4listIJNS_9statement4TileILl1ENS_10tile_fixedILl16EEENS_6policy3hip11hip_indexerINS_17iteration_mapping11StridedLoopILm0EEELNS_23kernel_sync_requirementE0EJNS_3hip11IndexGlobalILNS_9named_dimE1ELin1ELi0EEEEEEJNSL_ILl0ESN_NSQ_IST_LSU_0EJNSW_ILSX_0ELin1ELi0EEEEEEJNSK_3ForILl1ENSQ_IST_LSU_0EJNSW_ILSX_1ELi0ELin1EEEEEEJNS12_ILl0ENSQ_IST_LSU_0EJNSW_ILSX_0ELi0ELin1EEEEEEJNSK_6LambdaILl0EJEEEEEEEEEEEEEEEEEENS0_9LoopTypesINSJ_IJvvEEES1F_EEEEEEvT0_,"axG",@progbits,_ZN4RAJA8internal22HipKernelLauncherFixedILi1024ENS0_8LoopDataIN4camp5tupleIJNS_4SpanINS_9Iterators16numeric_iteratorIiiPiEEiEESA_EEENS4_IJEEENS3_9resources2v13HipEJZ4mainEUliiE1_EEENS0_24HipStatementListExecutorISH_NS3_4listIJNS_9statement4TileILl1ENS_10tile_fixedILl16EEENS_6policy3hip11hip_indexerINS_17iteration_mapping11StridedLoopILm0EEELNS_23kernel_sync_requirementE0EJNS_3hip11IndexGlobalILNS_9named_dimE1ELin1ELi0EEEEEEJNSL_ILl0ESN_NSQ_IST_LSU_0EJNSW_ILSX_0ELin1ELi0EEEEEEJNSK_3ForILl1ENSQ_IST_LSU_0EJNSW_ILSX_1ELi0ELin1EEEEEEJNS12_ILl0ENSQ_IST_LSU_0EJNSW_ILSX_0ELi0ELin1EEEEEEJNSK_6LambdaILl0EJEEEEEEEEEEEEEEEEEENS0_9LoopTypesINSJ_IJvvEEES1F_EEEEEEvT0_,comdat
.Lfunc_end2:
	.size	_ZN4RAJA8internal22HipKernelLauncherFixedILi1024ENS0_8LoopDataIN4camp5tupleIJNS_4SpanINS_9Iterators16numeric_iteratorIiiPiEEiEESA_EEENS4_IJEEENS3_9resources2v13HipEJZ4mainEUliiE1_EEENS0_24HipStatementListExecutorISH_NS3_4listIJNS_9statement4TileILl1ENS_10tile_fixedILl16EEENS_6policy3hip11hip_indexerINS_17iteration_mapping11StridedLoopILm0EEELNS_23kernel_sync_requirementE0EJNS_3hip11IndexGlobalILNS_9named_dimE1ELin1ELi0EEEEEEJNSL_ILl0ESN_NSQ_IST_LSU_0EJNSW_ILSX_0ELin1ELi0EEEEEEJNSK_3ForILl1ENSQ_IST_LSU_0EJNSW_ILSX_1ELi0ELin1EEEEEEJNS12_ILl0ENSQ_IST_LSU_0EJNSW_ILSX_0ELi0ELin1EEEEEEJNSK_6LambdaILl0EJEEEEEEEEEEEEEEEEEENS0_9LoopTypesINSJ_IJvvEEES1F_EEEEEEvT0_, .Lfunc_end2-_ZN4RAJA8internal22HipKernelLauncherFixedILi1024ENS0_8LoopDataIN4camp5tupleIJNS_4SpanINS_9Iterators16numeric_iteratorIiiPiEEiEESA_EEENS4_IJEEENS3_9resources2v13HipEJZ4mainEUliiE1_EEENS0_24HipStatementListExecutorISH_NS3_4listIJNS_9statement4TileILl1ENS_10tile_fixedILl16EEENS_6policy3hip11hip_indexerINS_17iteration_mapping11StridedLoopILm0EEELNS_23kernel_sync_requirementE0EJNS_3hip11IndexGlobalILNS_9named_dimE1ELin1ELi0EEEEEEJNSL_ILl0ESN_NSQ_IST_LSU_0EJNSW_ILSX_0ELin1ELi0EEEEEEJNSK_3ForILl1ENSQ_IST_LSU_0EJNSW_ILSX_1ELi0ELin1EEEEEEJNS12_ILl0ENSQ_IST_LSU_0EJNSW_ILSX_0ELi0ELin1EEEEEEJNSK_6LambdaILl0EJEEEEEEEEEEEEEEEEEENS0_9LoopTypesINSJ_IJvvEEES1F_EEEEEEvT0_
                                        ; -- End function
	.set _ZN4RAJA8internal22HipKernelLauncherFixedILi1024ENS0_8LoopDataIN4camp5tupleIJNS_4SpanINS_9Iterators16numeric_iteratorIiiPiEEiEESA_EEENS4_IJEEENS3_9resources2v13HipEJZ4mainEUliiE1_EEENS0_24HipStatementListExecutorISH_NS3_4listIJNS_9statement4TileILl1ENS_10tile_fixedILl16EEENS_6policy3hip11hip_indexerINS_17iteration_mapping11StridedLoopILm0EEELNS_23kernel_sync_requirementE0EJNS_3hip11IndexGlobalILNS_9named_dimE1ELin1ELi0EEEEEEJNSL_ILl0ESN_NSQ_IST_LSU_0EJNSW_ILSX_0ELin1ELi0EEEEEEJNSK_3ForILl1ENSQ_IST_LSU_0EJNSW_ILSX_1ELi0ELin1EEEEEEJNS12_ILl0ENSQ_IST_LSU_0EJNSW_ILSX_0ELi0ELin1EEEEEEJNSK_6LambdaILl0EJEEEEEEEEEEEEEEEEEENS0_9LoopTypesINSJ_IJvvEEES1F_EEEEEEvT0_.num_vgpr, 42
	.set _ZN4RAJA8internal22HipKernelLauncherFixedILi1024ENS0_8LoopDataIN4camp5tupleIJNS_4SpanINS_9Iterators16numeric_iteratorIiiPiEEiEESA_EEENS4_IJEEENS3_9resources2v13HipEJZ4mainEUliiE1_EEENS0_24HipStatementListExecutorISH_NS3_4listIJNS_9statement4TileILl1ENS_10tile_fixedILl16EEENS_6policy3hip11hip_indexerINS_17iteration_mapping11StridedLoopILm0EEELNS_23kernel_sync_requirementE0EJNS_3hip11IndexGlobalILNS_9named_dimE1ELin1ELi0EEEEEEJNSL_ILl0ESN_NSQ_IST_LSU_0EJNSW_ILSX_0ELin1ELi0EEEEEEJNSK_3ForILl1ENSQ_IST_LSU_0EJNSW_ILSX_1ELi0ELin1EEEEEEJNS12_ILl0ENSQ_IST_LSU_0EJNSW_ILSX_0ELi0ELin1EEEEEEJNSK_6LambdaILl0EJEEEEEEEEEEEEEEEEEENS0_9LoopTypesINSJ_IJvvEEES1F_EEEEEEvT0_.num_agpr, 0
	.set _ZN4RAJA8internal22HipKernelLauncherFixedILi1024ENS0_8LoopDataIN4camp5tupleIJNS_4SpanINS_9Iterators16numeric_iteratorIiiPiEEiEESA_EEENS4_IJEEENS3_9resources2v13HipEJZ4mainEUliiE1_EEENS0_24HipStatementListExecutorISH_NS3_4listIJNS_9statement4TileILl1ENS_10tile_fixedILl16EEENS_6policy3hip11hip_indexerINS_17iteration_mapping11StridedLoopILm0EEELNS_23kernel_sync_requirementE0EJNS_3hip11IndexGlobalILNS_9named_dimE1ELin1ELi0EEEEEEJNSL_ILl0ESN_NSQ_IST_LSU_0EJNSW_ILSX_0ELin1ELi0EEEEEEJNSK_3ForILl1ENSQ_IST_LSU_0EJNSW_ILSX_1ELi0ELin1EEEEEEJNS12_ILl0ENSQ_IST_LSU_0EJNSW_ILSX_0ELi0ELin1EEEEEEJNSK_6LambdaILl0EJEEEEEEEEEEEEEEEEEENS0_9LoopTypesINSJ_IJvvEEES1F_EEEEEEvT0_.numbered_sgpr, 58
	.set _ZN4RAJA8internal22HipKernelLauncherFixedILi1024ENS0_8LoopDataIN4camp5tupleIJNS_4SpanINS_9Iterators16numeric_iteratorIiiPiEEiEESA_EEENS4_IJEEENS3_9resources2v13HipEJZ4mainEUliiE1_EEENS0_24HipStatementListExecutorISH_NS3_4listIJNS_9statement4TileILl1ENS_10tile_fixedILl16EEENS_6policy3hip11hip_indexerINS_17iteration_mapping11StridedLoopILm0EEELNS_23kernel_sync_requirementE0EJNS_3hip11IndexGlobalILNS_9named_dimE1ELin1ELi0EEEEEEJNSL_ILl0ESN_NSQ_IST_LSU_0EJNSW_ILSX_0ELin1ELi0EEEEEEJNSK_3ForILl1ENSQ_IST_LSU_0EJNSW_ILSX_1ELi0ELin1EEEEEEJNS12_ILl0ENSQ_IST_LSU_0EJNSW_ILSX_0ELi0ELin1EEEEEEJNSK_6LambdaILl0EJEEEEEEEEEEEEEEEEEENS0_9LoopTypesINSJ_IJvvEEES1F_EEEEEEvT0_.num_named_barrier, 0
	.set _ZN4RAJA8internal22HipKernelLauncherFixedILi1024ENS0_8LoopDataIN4camp5tupleIJNS_4SpanINS_9Iterators16numeric_iteratorIiiPiEEiEESA_EEENS4_IJEEENS3_9resources2v13HipEJZ4mainEUliiE1_EEENS0_24HipStatementListExecutorISH_NS3_4listIJNS_9statement4TileILl1ENS_10tile_fixedILl16EEENS_6policy3hip11hip_indexerINS_17iteration_mapping11StridedLoopILm0EEELNS_23kernel_sync_requirementE0EJNS_3hip11IndexGlobalILNS_9named_dimE1ELin1ELi0EEEEEEJNSL_ILl0ESN_NSQ_IST_LSU_0EJNSW_ILSX_0ELin1ELi0EEEEEEJNSK_3ForILl1ENSQ_IST_LSU_0EJNSW_ILSX_1ELi0ELin1EEEEEEJNS12_ILl0ENSQ_IST_LSU_0EJNSW_ILSX_0ELi0ELin1EEEEEEJNSK_6LambdaILl0EJEEEEEEEEEEEEEEEEEENS0_9LoopTypesINSJ_IJvvEEES1F_EEEEEEvT0_.private_seg_size, 0
	.set _ZN4RAJA8internal22HipKernelLauncherFixedILi1024ENS0_8LoopDataIN4camp5tupleIJNS_4SpanINS_9Iterators16numeric_iteratorIiiPiEEiEESA_EEENS4_IJEEENS3_9resources2v13HipEJZ4mainEUliiE1_EEENS0_24HipStatementListExecutorISH_NS3_4listIJNS_9statement4TileILl1ENS_10tile_fixedILl16EEENS_6policy3hip11hip_indexerINS_17iteration_mapping11StridedLoopILm0EEELNS_23kernel_sync_requirementE0EJNS_3hip11IndexGlobalILNS_9named_dimE1ELin1ELi0EEEEEEJNSL_ILl0ESN_NSQ_IST_LSU_0EJNSW_ILSX_0ELin1ELi0EEEEEEJNSK_3ForILl1ENSQ_IST_LSU_0EJNSW_ILSX_1ELi0ELin1EEEEEEJNS12_ILl0ENSQ_IST_LSU_0EJNSW_ILSX_0ELi0ELin1EEEEEEJNSK_6LambdaILl0EJEEEEEEEEEEEEEEEEEENS0_9LoopTypesINSJ_IJvvEEES1F_EEEEEEvT0_.uses_vcc, 1
	.set _ZN4RAJA8internal22HipKernelLauncherFixedILi1024ENS0_8LoopDataIN4camp5tupleIJNS_4SpanINS_9Iterators16numeric_iteratorIiiPiEEiEESA_EEENS4_IJEEENS3_9resources2v13HipEJZ4mainEUliiE1_EEENS0_24HipStatementListExecutorISH_NS3_4listIJNS_9statement4TileILl1ENS_10tile_fixedILl16EEENS_6policy3hip11hip_indexerINS_17iteration_mapping11StridedLoopILm0EEELNS_23kernel_sync_requirementE0EJNS_3hip11IndexGlobalILNS_9named_dimE1ELin1ELi0EEEEEEJNSL_ILl0ESN_NSQ_IST_LSU_0EJNSW_ILSX_0ELin1ELi0EEEEEEJNSK_3ForILl1ENSQ_IST_LSU_0EJNSW_ILSX_1ELi0ELin1EEEEEEJNS12_ILl0ENSQ_IST_LSU_0EJNSW_ILSX_0ELi0ELin1EEEEEEJNSK_6LambdaILl0EJEEEEEEEEEEEEEEEEEENS0_9LoopTypesINSJ_IJvvEEES1F_EEEEEEvT0_.uses_flat_scratch, 0
	.set _ZN4RAJA8internal22HipKernelLauncherFixedILi1024ENS0_8LoopDataIN4camp5tupleIJNS_4SpanINS_9Iterators16numeric_iteratorIiiPiEEiEESA_EEENS4_IJEEENS3_9resources2v13HipEJZ4mainEUliiE1_EEENS0_24HipStatementListExecutorISH_NS3_4listIJNS_9statement4TileILl1ENS_10tile_fixedILl16EEENS_6policy3hip11hip_indexerINS_17iteration_mapping11StridedLoopILm0EEELNS_23kernel_sync_requirementE0EJNS_3hip11IndexGlobalILNS_9named_dimE1ELin1ELi0EEEEEEJNSL_ILl0ESN_NSQ_IST_LSU_0EJNSW_ILSX_0ELin1ELi0EEEEEEJNSK_3ForILl1ENSQ_IST_LSU_0EJNSW_ILSX_1ELi0ELin1EEEEEEJNS12_ILl0ENSQ_IST_LSU_0EJNSW_ILSX_0ELi0ELin1EEEEEEJNSK_6LambdaILl0EJEEEEEEEEEEEEEEEEEENS0_9LoopTypesINSJ_IJvvEEES1F_EEEEEEvT0_.has_dyn_sized_stack, 0
	.set _ZN4RAJA8internal22HipKernelLauncherFixedILi1024ENS0_8LoopDataIN4camp5tupleIJNS_4SpanINS_9Iterators16numeric_iteratorIiiPiEEiEESA_EEENS4_IJEEENS3_9resources2v13HipEJZ4mainEUliiE1_EEENS0_24HipStatementListExecutorISH_NS3_4listIJNS_9statement4TileILl1ENS_10tile_fixedILl16EEENS_6policy3hip11hip_indexerINS_17iteration_mapping11StridedLoopILm0EEELNS_23kernel_sync_requirementE0EJNS_3hip11IndexGlobalILNS_9named_dimE1ELin1ELi0EEEEEEJNSL_ILl0ESN_NSQ_IST_LSU_0EJNSW_ILSX_0ELin1ELi0EEEEEEJNSK_3ForILl1ENSQ_IST_LSU_0EJNSW_ILSX_1ELi0ELin1EEEEEEJNS12_ILl0ENSQ_IST_LSU_0EJNSW_ILSX_0ELi0ELin1EEEEEEJNSK_6LambdaILl0EJEEEEEEEEEEEEEEEEEENS0_9LoopTypesINSJ_IJvvEEES1F_EEEEEEvT0_.has_recursion, 0
	.set _ZN4RAJA8internal22HipKernelLauncherFixedILi1024ENS0_8LoopDataIN4camp5tupleIJNS_4SpanINS_9Iterators16numeric_iteratorIiiPiEEiEESA_EEENS4_IJEEENS3_9resources2v13HipEJZ4mainEUliiE1_EEENS0_24HipStatementListExecutorISH_NS3_4listIJNS_9statement4TileILl1ENS_10tile_fixedILl16EEENS_6policy3hip11hip_indexerINS_17iteration_mapping11StridedLoopILm0EEELNS_23kernel_sync_requirementE0EJNS_3hip11IndexGlobalILNS_9named_dimE1ELin1ELi0EEEEEEJNSL_ILl0ESN_NSQ_IST_LSU_0EJNSW_ILSX_0ELin1ELi0EEEEEEJNSK_3ForILl1ENSQ_IST_LSU_0EJNSW_ILSX_1ELi0ELin1EEEEEEJNS12_ILl0ENSQ_IST_LSU_0EJNSW_ILSX_0ELi0ELin1EEEEEEJNSK_6LambdaILl0EJEEEEEEEEEEEEEEEEEENS0_9LoopTypesINSJ_IJvvEEES1F_EEEEEEvT0_.has_indirect_call, 0
	.section	.AMDGPU.csdata,"",@progbits
; Kernel info:
; codeLenInByte = 964
; TotalNumSgprs: 60
; NumVgprs: 42
; ScratchSize: 0
; MemoryBound: 1
; FloatMode: 240
; IeeeMode: 1
; LDSByteSize: 0 bytes/workgroup (compile time only)
; SGPRBlocks: 0
; VGPRBlocks: 2
; NumSGPRsForWavesPerEU: 60
; NumVGPRsForWavesPerEU: 42
; NamedBarCnt: 0
; Occupancy: 16
; WaveLimiterHint : 0
; COMPUTE_PGM_RSRC2:SCRATCH_EN: 0
; COMPUTE_PGM_RSRC2:USER_SGPR: 2
; COMPUTE_PGM_RSRC2:TRAP_HANDLER: 0
; COMPUTE_PGM_RSRC2:TGID_X_EN: 1
; COMPUTE_PGM_RSRC2:TGID_Y_EN: 1
; COMPUTE_PGM_RSRC2:TGID_Z_EN: 0
; COMPUTE_PGM_RSRC2:TIDIG_COMP_CNT: 1
	.section	.text._ZN4RAJA8internal22HipKernelLauncherFixedILi1024ENS0_8LoopDataIN4camp5tupleIJNS_4SpanINS_9Iterators16numeric_iteratorIiiPiEEiEESA_SA_EEENS4_IJdEEENS3_9resources2v13HipEJZ4mainEUlRdE1_Z4mainEUliiiSG_E1_Z4mainEUliiSG_E1_EEENS0_24HipStatementListExecutorISK_NS3_4listIJNS_9statement3ForILl1ENS_6policy3hip11hip_indexerINS_17iteration_mapping11StridedLoopILm0EEELNS_23kernel_sync_requirementE0EJNS_3hip11IndexGlobalILNS_9named_dimE0ELin1ELi0EEEEEEJNSO_ILl0ENSR_ISU_LSV_0EJNSX_ILSY_0ELi0ELin1EEEEEEJNSN_6LambdaILl0EJNSM_IJNS0_9LambdaArgINS0_18lambda_arg_param_tELl0EEEEEEEEENSO_ILl2ENSP_10sequential8seq_execEJNS13_ILl1EJEEEEEENS13_ILl2EJNSM_IJNS14_INS0_16lambda_arg_seg_tELl0EEENS14_IS1D_Ll1EEEEEES17_EEEEEEEEEEEENS0_9LoopTypesINSM_IJvvvEEES1M_EEEEEEvT0_,"axG",@progbits,_ZN4RAJA8internal22HipKernelLauncherFixedILi1024ENS0_8LoopDataIN4camp5tupleIJNS_4SpanINS_9Iterators16numeric_iteratorIiiPiEEiEESA_SA_EEENS4_IJdEEENS3_9resources2v13HipEJZ4mainEUlRdE1_Z4mainEUliiiSG_E1_Z4mainEUliiSG_E1_EEENS0_24HipStatementListExecutorISK_NS3_4listIJNS_9statement3ForILl1ENS_6policy3hip11hip_indexerINS_17iteration_mapping11StridedLoopILm0EEELNS_23kernel_sync_requirementE0EJNS_3hip11IndexGlobalILNS_9named_dimE0ELin1ELi0EEEEEEJNSO_ILl0ENSR_ISU_LSV_0EJNSX_ILSY_0ELi0ELin1EEEEEEJNSN_6LambdaILl0EJNSM_IJNS0_9LambdaArgINS0_18lambda_arg_param_tELl0EEEEEEEEENSO_ILl2ENSP_10sequential8seq_execEJNS13_ILl1EJEEEEEENS13_ILl2EJNSM_IJNS14_INS0_16lambda_arg_seg_tELl0EEENS14_IS1D_Ll1EEEEEES17_EEEEEEEEEEEENS0_9LoopTypesINSM_IJvvvEEES1M_EEEEEEvT0_,comdat
	.globl	_ZN4RAJA8internal22HipKernelLauncherFixedILi1024ENS0_8LoopDataIN4camp5tupleIJNS_4SpanINS_9Iterators16numeric_iteratorIiiPiEEiEESA_SA_EEENS4_IJdEEENS3_9resources2v13HipEJZ4mainEUlRdE1_Z4mainEUliiiSG_E1_Z4mainEUliiSG_E1_EEENS0_24HipStatementListExecutorISK_NS3_4listIJNS_9statement3ForILl1ENS_6policy3hip11hip_indexerINS_17iteration_mapping11StridedLoopILm0EEELNS_23kernel_sync_requirementE0EJNS_3hip11IndexGlobalILNS_9named_dimE0ELin1ELi0EEEEEEJNSO_ILl0ENSR_ISU_LSV_0EJNSX_ILSY_0ELi0ELin1EEEEEEJNSN_6LambdaILl0EJNSM_IJNS0_9LambdaArgINS0_18lambda_arg_param_tELl0EEEEEEEEENSO_ILl2ENSP_10sequential8seq_execEJNS13_ILl1EJEEEEEENS13_ILl2EJNSM_IJNS14_INS0_16lambda_arg_seg_tELl0EEENS14_IS1D_Ll1EEEEEES17_EEEEEEEEEEEENS0_9LoopTypesINSM_IJvvvEEES1M_EEEEEEvT0_ ; -- Begin function _ZN4RAJA8internal22HipKernelLauncherFixedILi1024ENS0_8LoopDataIN4camp5tupleIJNS_4SpanINS_9Iterators16numeric_iteratorIiiPiEEiEESA_SA_EEENS4_IJdEEENS3_9resources2v13HipEJZ4mainEUlRdE1_Z4mainEUliiiSG_E1_Z4mainEUliiSG_E1_EEENS0_24HipStatementListExecutorISK_NS3_4listIJNS_9statement3ForILl1ENS_6policy3hip11hip_indexerINS_17iteration_mapping11StridedLoopILm0EEELNS_23kernel_sync_requirementE0EJNS_3hip11IndexGlobalILNS_9named_dimE0ELin1ELi0EEEEEEJNSO_ILl0ENSR_ISU_LSV_0EJNSX_ILSY_0ELi0ELin1EEEEEEJNSN_6LambdaILl0EJNSM_IJNS0_9LambdaArgINS0_18lambda_arg_param_tELl0EEEEEEEEENSO_ILl2ENSP_10sequential8seq_execEJNS13_ILl1EJEEEEEENS13_ILl2EJNSM_IJNS14_INS0_16lambda_arg_seg_tELl0EEENS14_IS1D_Ll1EEEEEES17_EEEEEEEEEEEENS0_9LoopTypesINSM_IJvvvEEES1M_EEEEEEvT0_
	.p2align	8
	.type	_ZN4RAJA8internal22HipKernelLauncherFixedILi1024ENS0_8LoopDataIN4camp5tupleIJNS_4SpanINS_9Iterators16numeric_iteratorIiiPiEEiEESA_SA_EEENS4_IJdEEENS3_9resources2v13HipEJZ4mainEUlRdE1_Z4mainEUliiiSG_E1_Z4mainEUliiSG_E1_EEENS0_24HipStatementListExecutorISK_NS3_4listIJNS_9statement3ForILl1ENS_6policy3hip11hip_indexerINS_17iteration_mapping11StridedLoopILm0EEELNS_23kernel_sync_requirementE0EJNS_3hip11IndexGlobalILNS_9named_dimE0ELin1ELi0EEEEEEJNSO_ILl0ENSR_ISU_LSV_0EJNSX_ILSY_0ELi0ELin1EEEEEEJNSN_6LambdaILl0EJNSM_IJNS0_9LambdaArgINS0_18lambda_arg_param_tELl0EEEEEEEEENSO_ILl2ENSP_10sequential8seq_execEJNS13_ILl1EJEEEEEENS13_ILl2EJNSM_IJNS14_INS0_16lambda_arg_seg_tELl0EEENS14_IS1D_Ll1EEEEEES17_EEEEEEEEEEEENS0_9LoopTypesINSM_IJvvvEEES1M_EEEEEEvT0_,@function
_ZN4RAJA8internal22HipKernelLauncherFixedILi1024ENS0_8LoopDataIN4camp5tupleIJNS_4SpanINS_9Iterators16numeric_iteratorIiiPiEEiEESA_SA_EEENS4_IJdEEENS3_9resources2v13HipEJZ4mainEUlRdE1_Z4mainEUliiiSG_E1_Z4mainEUliiSG_E1_EEENS0_24HipStatementListExecutorISK_NS3_4listIJNS_9statement3ForILl1ENS_6policy3hip11hip_indexerINS_17iteration_mapping11StridedLoopILm0EEELNS_23kernel_sync_requirementE0EJNS_3hip11IndexGlobalILNS_9named_dimE0ELin1ELi0EEEEEEJNSO_ILl0ENSR_ISU_LSV_0EJNSX_ILSY_0ELi0ELin1EEEEEEJNSN_6LambdaILl0EJNSM_IJNS0_9LambdaArgINS0_18lambda_arg_param_tELl0EEEEEEEEENSO_ILl2ENSP_10sequential8seq_execEJNS13_ILl1EJEEEEEENS13_ILl2EJNSM_IJNS14_INS0_16lambda_arg_seg_tELl0EEENS14_IS1D_Ll1EEEEEES17_EEEEEEEEEEEENS0_9LoopTypesINSM_IJvvvEEES1M_EEEEEEvT0_: ; @_ZN4RAJA8internal22HipKernelLauncherFixedILi1024ENS0_8LoopDataIN4camp5tupleIJNS_4SpanINS_9Iterators16numeric_iteratorIiiPiEEiEESA_SA_EEENS4_IJdEEENS3_9resources2v13HipEJZ4mainEUlRdE1_Z4mainEUliiiSG_E1_Z4mainEUliiSG_E1_EEENS0_24HipStatementListExecutorISK_NS3_4listIJNS_9statement3ForILl1ENS_6policy3hip11hip_indexerINS_17iteration_mapping11StridedLoopILm0EEELNS_23kernel_sync_requirementE0EJNS_3hip11IndexGlobalILNS_9named_dimE0ELin1ELi0EEEEEEJNSO_ILl0ENSR_ISU_LSV_0EJNSX_ILSY_0ELi0ELin1EEEEEEJNSN_6LambdaILl0EJNSM_IJNS0_9LambdaArgINS0_18lambda_arg_param_tELl0EEEEEEEEENSO_ILl2ENSP_10sequential8seq_execEJNS13_ILl1EJEEEEEENS13_ILl2EJNSM_IJNS14_INS0_16lambda_arg_seg_tELl0EEENS14_IS1D_Ll1EEEEEES17_EEEEEEEEEEEENS0_9LoopTypesINSM_IJvvvEEES1M_EEEEEEvT0_
; %bb.0:
	s_load_b96 s[8:10], s[0:1], 0x8
	s_bfe_u32 s2, ttmp6, 0x4000c
	s_and_b32 s3, ttmp6, 15
	s_add_co_i32 s2, s2, 1
	s_getreg_b32 s4, hwreg(HW_REG_IB_STS2, 6, 4)
	s_mul_i32 s2, ttmp9, s2
	s_mov_b32 s15, 0
	s_add_co_i32 s3, s3, s2
	s_wait_kmcnt 0x0
	s_sub_co_i32 s9, s9, s8
	s_cmp_eq_u32 s4, 0
	s_cselect_b32 s33, ttmp9, s3
	s_delay_alu instid0(SALU_CYCLE_1)
	s_cmp_ge_i32 s33, s9
	s_cbranch_scc1 .LBB3_10
; %bb.1:
	s_clause 0x8
	s_load_b64 s[2:3], s[0:1], 0x0
	s_load_b32 s34, s[0:1], 0x120
	s_load_b32 s11, s[0:1], 0x14
	s_load_b128 s[16:19], s[0:1], 0x90
	s_load_b128 s[4:7], s[0:1], 0xd8
	s_load_b64 s[20:21], s[0:1], 0x78
	s_load_b64 s[22:23], s[0:1], 0x30
	s_load_b128 s[24:27], s[0:1], 0x48
	s_load_b64 s[12:13], s[0:1], 0xc0
	s_add_nc_u64 s[28:29], s[0:1], 0x120
	s_wait_kmcnt 0x0
	v_dual_mov_b32 v6, 0 :: v_dual_add_nc_u32 v1, s2, v0
	s_sub_co_i32 s3, s3, s2
	s_cmp_lt_u32 s33, s34
	v_cmp_gt_i32_e64 s0, s3, v0
	s_cselect_b32 s14, 12, 18
	s_sub_co_i32 s1, s11, s10
	s_add_nc_u64 s[14:15], s[28:29], s[14:15]
	s_cmp_gt_i32 s1, 0
	s_load_u16 s35, s[14:15], 0x0
	s_cselect_b32 s36, -1, 0
	s_ashr_i32 s29, s10, 31
	s_mov_b32 s28, s10
	s_wait_xcnt 0x0
	s_lshl_b64 s[14:15], s[18:19], 3
	s_mul_u64 s[10:11], s[16:17], s[28:29]
	s_mul_u64 s[18:19], s[26:27], s[28:29]
	s_lshl_b64 s[10:11], s[10:11], 3
	s_lshl_b64 s[18:19], s[18:19], 3
	s_add_nc_u64 s[10:11], s[20:21], s[10:11]
	s_lshl_b64 s[16:17], s[16:17], 3
	s_add_nc_u64 s[18:19], s[22:23], s[18:19]
	s_lshl_b64 s[20:21], s[24:25], 3
	s_add_co_i32 s22, s8, s33
	s_lshl_b64 s[24:25], s[26:27], 3
	s_branch .LBB3_3
.LBB3_2:                                ;   in Loop: Header=BB3_3 Depth=1
	s_or_b32 exec_lo, exec_lo, s37
	s_add_co_i32 s33, s33, s34
	s_add_co_i32 s22, s22, s34
	s_cmp_lt_i32 s33, s9
	s_cbranch_scc0 .LBB3_10
.LBB3_3:                                ; =>This Loop Header: Depth=1
                                        ;     Child Loop BB3_7 Depth 2
                                        ;       Child Loop BB3_9 Depth 3
	s_and_saveexec_b32 s37, s0
	s_cbranch_execz .LBB3_2
; %bb.4:                                ;   in Loop: Header=BB3_3 Depth=1
	s_add_co_i32 s26, s33, s8
	s_ashr_i32 s23, s22, 31
	s_ashr_i32 s27, s26, 31
	v_dual_mov_b32 v7, v1 :: v_dual_mov_b32 v8, v0
	s_mul_u64 s[26:27], s[4:5], s[26:27]
	s_mul_u64 s[28:29], s[20:21], s[22:23]
	s_lshl_b64 s[30:31], s[26:27], 3
	s_add_nc_u64 s[26:27], s[18:19], s[28:29]
	s_add_nc_u64 s[28:29], s[12:13], s[30:31]
	s_mov_b32 s23, 0
	s_branch .LBB3_7
.LBB3_5:                                ;   in Loop: Header=BB3_7 Depth=2
	v_mov_b64_e32 v[2:3], 0
.LBB3_6:                                ;   in Loop: Header=BB3_7 Depth=2
	s_wait_kmcnt 0x0
	v_dual_add_nc_u32 v4, s2, v8 :: v_dual_add_nc_u32 v8, s35, v8
	s_delay_alu instid0(VALU_DEP_1) | instskip(NEXT) | instid1(VALU_DEP_2)
	v_dual_add_nc_u32 v7, s35, v7 :: v_dual_ashrrev_i32 v5, 31, v4
	v_cmp_le_i32_e32 vcc_lo, s3, v8
	s_delay_alu instid0(VALU_DEP_2) | instskip(SKIP_1) | instid1(VALU_DEP_1)
	v_mul_u64_e32 v[4:5], s[6:7], v[4:5]
	s_or_b32 s23, vcc_lo, s23
	v_lshl_add_u64 v[4:5], v[4:5], 3, s[28:29]
	global_store_b64 v[4:5], v[2:3], off
	s_wait_xcnt 0x0
	s_and_not1_b32 exec_lo, exec_lo, s23
	s_cbranch_execz .LBB3_2
.LBB3_7:                                ;   Parent Loop BB3_3 Depth=1
                                        ; =>  This Loop Header: Depth=2
                                        ;       Child Loop BB3_9 Depth 3
	s_and_not1_b32 vcc_lo, exec_lo, s36
	s_cbranch_vccnz .LBB3_5
; %bb.8:                                ;   in Loop: Header=BB3_7 Depth=2
	v_mad_nc_u64_u32 v[4:5], s14, v7, s[10:11]
	v_ashrrev_i32_e32 v3, 31, v7
	s_mov_b32 s38, 0
	s_mov_b64 s[30:31], s[26:27]
	s_delay_alu instid0(VALU_DEP_2) | instskip(NEXT) | instid1(VALU_DEP_1)
	v_mad_u32 v2, s15, v7, v5
	v_mad_u32 v5, s14, v3, v2
	v_mov_b64_e32 v[2:3], 0
.LBB3_9:                                ;   Parent Loop BB3_3 Depth=1
                                        ;     Parent Loop BB3_7 Depth=2
                                        ; =>    This Inner Loop Header: Depth=3
	global_load_b64 v[10:11], v6, s[30:31]
	global_load_b64 v[12:13], v[4:5], off
	s_wait_xcnt 0x0
	v_add_nc_u64_e32 v[4:5], s[16:17], v[4:5]
	s_add_co_i32 s38, s38, 1
	s_add_nc_u64 s[30:31], s[30:31], s[24:25]
	s_cmp_lt_i32 s38, s1
	s_wait_loadcnt 0x0
	v_fmac_f64_e32 v[2:3], v[10:11], v[12:13]
	s_cbranch_scc1 .LBB3_9
	s_branch .LBB3_6
.LBB3_10:
	s_endpgm
	.section	.rodata,"a",@progbits
	.p2align	6, 0x0
	.amdhsa_kernel _ZN4RAJA8internal22HipKernelLauncherFixedILi1024ENS0_8LoopDataIN4camp5tupleIJNS_4SpanINS_9Iterators16numeric_iteratorIiiPiEEiEESA_SA_EEENS4_IJdEEENS3_9resources2v13HipEJZ4mainEUlRdE1_Z4mainEUliiiSG_E1_Z4mainEUliiSG_E1_EEENS0_24HipStatementListExecutorISK_NS3_4listIJNS_9statement3ForILl1ENS_6policy3hip11hip_indexerINS_17iteration_mapping11StridedLoopILm0EEELNS_23kernel_sync_requirementE0EJNS_3hip11IndexGlobalILNS_9named_dimE0ELin1ELi0EEEEEEJNSO_ILl0ENSR_ISU_LSV_0EJNSX_ILSY_0ELi0ELin1EEEEEEJNSN_6LambdaILl0EJNSM_IJNS0_9LambdaArgINS0_18lambda_arg_param_tELl0EEEEEEEEENSO_ILl2ENSP_10sequential8seq_execEJNS13_ILl1EJEEEEEENS13_ILl2EJNSM_IJNS14_INS0_16lambda_arg_seg_tELl0EEENS14_IS1D_Ll1EEEEEES17_EEEEEEEEEEEENS0_9LoopTypesINSM_IJvvvEEES1M_EEEEEEvT0_
		.amdhsa_group_segment_fixed_size 0
		.amdhsa_private_segment_fixed_size 0
		.amdhsa_kernarg_size 544
		.amdhsa_user_sgpr_count 2
		.amdhsa_user_sgpr_dispatch_ptr 0
		.amdhsa_user_sgpr_queue_ptr 0
		.amdhsa_user_sgpr_kernarg_segment_ptr 1
		.amdhsa_user_sgpr_dispatch_id 0
		.amdhsa_user_sgpr_kernarg_preload_length 0
		.amdhsa_user_sgpr_kernarg_preload_offset 0
		.amdhsa_user_sgpr_private_segment_size 0
		.amdhsa_wavefront_size32 1
		.amdhsa_uses_dynamic_stack 0
		.amdhsa_enable_private_segment 0
		.amdhsa_system_sgpr_workgroup_id_x 1
		.amdhsa_system_sgpr_workgroup_id_y 0
		.amdhsa_system_sgpr_workgroup_id_z 0
		.amdhsa_system_sgpr_workgroup_info 0
		.amdhsa_system_vgpr_workitem_id 0
		.amdhsa_next_free_vgpr 14
		.amdhsa_next_free_sgpr 39
		.amdhsa_named_barrier_count 0
		.amdhsa_reserve_vcc 1
		.amdhsa_float_round_mode_32 0
		.amdhsa_float_round_mode_16_64 0
		.amdhsa_float_denorm_mode_32 3
		.amdhsa_float_denorm_mode_16_64 3
		.amdhsa_fp16_overflow 0
		.amdhsa_memory_ordered 1
		.amdhsa_forward_progress 1
		.amdhsa_inst_pref_size 5
		.amdhsa_round_robin_scheduling 0
		.amdhsa_exception_fp_ieee_invalid_op 0
		.amdhsa_exception_fp_denorm_src 0
		.amdhsa_exception_fp_ieee_div_zero 0
		.amdhsa_exception_fp_ieee_overflow 0
		.amdhsa_exception_fp_ieee_underflow 0
		.amdhsa_exception_fp_ieee_inexact 0
		.amdhsa_exception_int_div_zero 0
	.end_amdhsa_kernel
	.section	.text._ZN4RAJA8internal22HipKernelLauncherFixedILi1024ENS0_8LoopDataIN4camp5tupleIJNS_4SpanINS_9Iterators16numeric_iteratorIiiPiEEiEESA_SA_EEENS4_IJdEEENS3_9resources2v13HipEJZ4mainEUlRdE1_Z4mainEUliiiSG_E1_Z4mainEUliiSG_E1_EEENS0_24HipStatementListExecutorISK_NS3_4listIJNS_9statement3ForILl1ENS_6policy3hip11hip_indexerINS_17iteration_mapping11StridedLoopILm0EEELNS_23kernel_sync_requirementE0EJNS_3hip11IndexGlobalILNS_9named_dimE0ELin1ELi0EEEEEEJNSO_ILl0ENSR_ISU_LSV_0EJNSX_ILSY_0ELi0ELin1EEEEEEJNSN_6LambdaILl0EJNSM_IJNS0_9LambdaArgINS0_18lambda_arg_param_tELl0EEEEEEEEENSO_ILl2ENSP_10sequential8seq_execEJNS13_ILl1EJEEEEEENS13_ILl2EJNSM_IJNS14_INS0_16lambda_arg_seg_tELl0EEENS14_IS1D_Ll1EEEEEES17_EEEEEEEEEEEENS0_9LoopTypesINSM_IJvvvEEES1M_EEEEEEvT0_,"axG",@progbits,_ZN4RAJA8internal22HipKernelLauncherFixedILi1024ENS0_8LoopDataIN4camp5tupleIJNS_4SpanINS_9Iterators16numeric_iteratorIiiPiEEiEESA_SA_EEENS4_IJdEEENS3_9resources2v13HipEJZ4mainEUlRdE1_Z4mainEUliiiSG_E1_Z4mainEUliiSG_E1_EEENS0_24HipStatementListExecutorISK_NS3_4listIJNS_9statement3ForILl1ENS_6policy3hip11hip_indexerINS_17iteration_mapping11StridedLoopILm0EEELNS_23kernel_sync_requirementE0EJNS_3hip11IndexGlobalILNS_9named_dimE0ELin1ELi0EEEEEEJNSO_ILl0ENSR_ISU_LSV_0EJNSX_ILSY_0ELi0ELin1EEEEEEJNSN_6LambdaILl0EJNSM_IJNS0_9LambdaArgINS0_18lambda_arg_param_tELl0EEEEEEEEENSO_ILl2ENSP_10sequential8seq_execEJNS13_ILl1EJEEEEEENS13_ILl2EJNSM_IJNS14_INS0_16lambda_arg_seg_tELl0EEENS14_IS1D_Ll1EEEEEES17_EEEEEEEEEEEENS0_9LoopTypesINSM_IJvvvEEES1M_EEEEEEvT0_,comdat
.Lfunc_end3:
	.size	_ZN4RAJA8internal22HipKernelLauncherFixedILi1024ENS0_8LoopDataIN4camp5tupleIJNS_4SpanINS_9Iterators16numeric_iteratorIiiPiEEiEESA_SA_EEENS4_IJdEEENS3_9resources2v13HipEJZ4mainEUlRdE1_Z4mainEUliiiSG_E1_Z4mainEUliiSG_E1_EEENS0_24HipStatementListExecutorISK_NS3_4listIJNS_9statement3ForILl1ENS_6policy3hip11hip_indexerINS_17iteration_mapping11StridedLoopILm0EEELNS_23kernel_sync_requirementE0EJNS_3hip11IndexGlobalILNS_9named_dimE0ELin1ELi0EEEEEEJNSO_ILl0ENSR_ISU_LSV_0EJNSX_ILSY_0ELi0ELin1EEEEEEJNSN_6LambdaILl0EJNSM_IJNS0_9LambdaArgINS0_18lambda_arg_param_tELl0EEEEEEEEENSO_ILl2ENSP_10sequential8seq_execEJNS13_ILl1EJEEEEEENS13_ILl2EJNSM_IJNS14_INS0_16lambda_arg_seg_tELl0EEENS14_IS1D_Ll1EEEEEES17_EEEEEEEEEEEENS0_9LoopTypesINSM_IJvvvEEES1M_EEEEEEvT0_, .Lfunc_end3-_ZN4RAJA8internal22HipKernelLauncherFixedILi1024ENS0_8LoopDataIN4camp5tupleIJNS_4SpanINS_9Iterators16numeric_iteratorIiiPiEEiEESA_SA_EEENS4_IJdEEENS3_9resources2v13HipEJZ4mainEUlRdE1_Z4mainEUliiiSG_E1_Z4mainEUliiSG_E1_EEENS0_24HipStatementListExecutorISK_NS3_4listIJNS_9statement3ForILl1ENS_6policy3hip11hip_indexerINS_17iteration_mapping11StridedLoopILm0EEELNS_23kernel_sync_requirementE0EJNS_3hip11IndexGlobalILNS_9named_dimE0ELin1ELi0EEEEEEJNSO_ILl0ENSR_ISU_LSV_0EJNSX_ILSY_0ELi0ELin1EEEEEEJNSN_6LambdaILl0EJNSM_IJNS0_9LambdaArgINS0_18lambda_arg_param_tELl0EEEEEEEEENSO_ILl2ENSP_10sequential8seq_execEJNS13_ILl1EJEEEEEENS13_ILl2EJNSM_IJNS14_INS0_16lambda_arg_seg_tELl0EEENS14_IS1D_Ll1EEEEEES17_EEEEEEEEEEEENS0_9LoopTypesINSM_IJvvvEEES1M_EEEEEEvT0_
                                        ; -- End function
	.set _ZN4RAJA8internal22HipKernelLauncherFixedILi1024ENS0_8LoopDataIN4camp5tupleIJNS_4SpanINS_9Iterators16numeric_iteratorIiiPiEEiEESA_SA_EEENS4_IJdEEENS3_9resources2v13HipEJZ4mainEUlRdE1_Z4mainEUliiiSG_E1_Z4mainEUliiSG_E1_EEENS0_24HipStatementListExecutorISK_NS3_4listIJNS_9statement3ForILl1ENS_6policy3hip11hip_indexerINS_17iteration_mapping11StridedLoopILm0EEELNS_23kernel_sync_requirementE0EJNS_3hip11IndexGlobalILNS_9named_dimE0ELin1ELi0EEEEEEJNSO_ILl0ENSR_ISU_LSV_0EJNSX_ILSY_0ELi0ELin1EEEEEEJNSN_6LambdaILl0EJNSM_IJNS0_9LambdaArgINS0_18lambda_arg_param_tELl0EEEEEEEEENSO_ILl2ENSP_10sequential8seq_execEJNS13_ILl1EJEEEEEENS13_ILl2EJNSM_IJNS14_INS0_16lambda_arg_seg_tELl0EEENS14_IS1D_Ll1EEEEEES17_EEEEEEEEEEEENS0_9LoopTypesINSM_IJvvvEEES1M_EEEEEEvT0_.num_vgpr, 14
	.set _ZN4RAJA8internal22HipKernelLauncherFixedILi1024ENS0_8LoopDataIN4camp5tupleIJNS_4SpanINS_9Iterators16numeric_iteratorIiiPiEEiEESA_SA_EEENS4_IJdEEENS3_9resources2v13HipEJZ4mainEUlRdE1_Z4mainEUliiiSG_E1_Z4mainEUliiSG_E1_EEENS0_24HipStatementListExecutorISK_NS3_4listIJNS_9statement3ForILl1ENS_6policy3hip11hip_indexerINS_17iteration_mapping11StridedLoopILm0EEELNS_23kernel_sync_requirementE0EJNS_3hip11IndexGlobalILNS_9named_dimE0ELin1ELi0EEEEEEJNSO_ILl0ENSR_ISU_LSV_0EJNSX_ILSY_0ELi0ELin1EEEEEEJNSN_6LambdaILl0EJNSM_IJNS0_9LambdaArgINS0_18lambda_arg_param_tELl0EEEEEEEEENSO_ILl2ENSP_10sequential8seq_execEJNS13_ILl1EJEEEEEENS13_ILl2EJNSM_IJNS14_INS0_16lambda_arg_seg_tELl0EEENS14_IS1D_Ll1EEEEEES17_EEEEEEEEEEEENS0_9LoopTypesINSM_IJvvvEEES1M_EEEEEEvT0_.num_agpr, 0
	.set _ZN4RAJA8internal22HipKernelLauncherFixedILi1024ENS0_8LoopDataIN4camp5tupleIJNS_4SpanINS_9Iterators16numeric_iteratorIiiPiEEiEESA_SA_EEENS4_IJdEEENS3_9resources2v13HipEJZ4mainEUlRdE1_Z4mainEUliiiSG_E1_Z4mainEUliiSG_E1_EEENS0_24HipStatementListExecutorISK_NS3_4listIJNS_9statement3ForILl1ENS_6policy3hip11hip_indexerINS_17iteration_mapping11StridedLoopILm0EEELNS_23kernel_sync_requirementE0EJNS_3hip11IndexGlobalILNS_9named_dimE0ELin1ELi0EEEEEEJNSO_ILl0ENSR_ISU_LSV_0EJNSX_ILSY_0ELi0ELin1EEEEEEJNSN_6LambdaILl0EJNSM_IJNS0_9LambdaArgINS0_18lambda_arg_param_tELl0EEEEEEEEENSO_ILl2ENSP_10sequential8seq_execEJNS13_ILl1EJEEEEEENS13_ILl2EJNSM_IJNS14_INS0_16lambda_arg_seg_tELl0EEENS14_IS1D_Ll1EEEEEES17_EEEEEEEEEEEENS0_9LoopTypesINSM_IJvvvEEES1M_EEEEEEvT0_.numbered_sgpr, 39
	.set _ZN4RAJA8internal22HipKernelLauncherFixedILi1024ENS0_8LoopDataIN4camp5tupleIJNS_4SpanINS_9Iterators16numeric_iteratorIiiPiEEiEESA_SA_EEENS4_IJdEEENS3_9resources2v13HipEJZ4mainEUlRdE1_Z4mainEUliiiSG_E1_Z4mainEUliiSG_E1_EEENS0_24HipStatementListExecutorISK_NS3_4listIJNS_9statement3ForILl1ENS_6policy3hip11hip_indexerINS_17iteration_mapping11StridedLoopILm0EEELNS_23kernel_sync_requirementE0EJNS_3hip11IndexGlobalILNS_9named_dimE0ELin1ELi0EEEEEEJNSO_ILl0ENSR_ISU_LSV_0EJNSX_ILSY_0ELi0ELin1EEEEEEJNSN_6LambdaILl0EJNSM_IJNS0_9LambdaArgINS0_18lambda_arg_param_tELl0EEEEEEEEENSO_ILl2ENSP_10sequential8seq_execEJNS13_ILl1EJEEEEEENS13_ILl2EJNSM_IJNS14_INS0_16lambda_arg_seg_tELl0EEENS14_IS1D_Ll1EEEEEES17_EEEEEEEEEEEENS0_9LoopTypesINSM_IJvvvEEES1M_EEEEEEvT0_.num_named_barrier, 0
	.set _ZN4RAJA8internal22HipKernelLauncherFixedILi1024ENS0_8LoopDataIN4camp5tupleIJNS_4SpanINS_9Iterators16numeric_iteratorIiiPiEEiEESA_SA_EEENS4_IJdEEENS3_9resources2v13HipEJZ4mainEUlRdE1_Z4mainEUliiiSG_E1_Z4mainEUliiSG_E1_EEENS0_24HipStatementListExecutorISK_NS3_4listIJNS_9statement3ForILl1ENS_6policy3hip11hip_indexerINS_17iteration_mapping11StridedLoopILm0EEELNS_23kernel_sync_requirementE0EJNS_3hip11IndexGlobalILNS_9named_dimE0ELin1ELi0EEEEEEJNSO_ILl0ENSR_ISU_LSV_0EJNSX_ILSY_0ELi0ELin1EEEEEEJNSN_6LambdaILl0EJNSM_IJNS0_9LambdaArgINS0_18lambda_arg_param_tELl0EEEEEEEEENSO_ILl2ENSP_10sequential8seq_execEJNS13_ILl1EJEEEEEENS13_ILl2EJNSM_IJNS14_INS0_16lambda_arg_seg_tELl0EEENS14_IS1D_Ll1EEEEEES17_EEEEEEEEEEEENS0_9LoopTypesINSM_IJvvvEEES1M_EEEEEEvT0_.private_seg_size, 0
	.set _ZN4RAJA8internal22HipKernelLauncherFixedILi1024ENS0_8LoopDataIN4camp5tupleIJNS_4SpanINS_9Iterators16numeric_iteratorIiiPiEEiEESA_SA_EEENS4_IJdEEENS3_9resources2v13HipEJZ4mainEUlRdE1_Z4mainEUliiiSG_E1_Z4mainEUliiSG_E1_EEENS0_24HipStatementListExecutorISK_NS3_4listIJNS_9statement3ForILl1ENS_6policy3hip11hip_indexerINS_17iteration_mapping11StridedLoopILm0EEELNS_23kernel_sync_requirementE0EJNS_3hip11IndexGlobalILNS_9named_dimE0ELin1ELi0EEEEEEJNSO_ILl0ENSR_ISU_LSV_0EJNSX_ILSY_0ELi0ELin1EEEEEEJNSN_6LambdaILl0EJNSM_IJNS0_9LambdaArgINS0_18lambda_arg_param_tELl0EEEEEEEEENSO_ILl2ENSP_10sequential8seq_execEJNS13_ILl1EJEEEEEENS13_ILl2EJNSM_IJNS14_INS0_16lambda_arg_seg_tELl0EEENS14_IS1D_Ll1EEEEEES17_EEEEEEEEEEEENS0_9LoopTypesINSM_IJvvvEEES1M_EEEEEEvT0_.uses_vcc, 1
	.set _ZN4RAJA8internal22HipKernelLauncherFixedILi1024ENS0_8LoopDataIN4camp5tupleIJNS_4SpanINS_9Iterators16numeric_iteratorIiiPiEEiEESA_SA_EEENS4_IJdEEENS3_9resources2v13HipEJZ4mainEUlRdE1_Z4mainEUliiiSG_E1_Z4mainEUliiSG_E1_EEENS0_24HipStatementListExecutorISK_NS3_4listIJNS_9statement3ForILl1ENS_6policy3hip11hip_indexerINS_17iteration_mapping11StridedLoopILm0EEELNS_23kernel_sync_requirementE0EJNS_3hip11IndexGlobalILNS_9named_dimE0ELin1ELi0EEEEEEJNSO_ILl0ENSR_ISU_LSV_0EJNSX_ILSY_0ELi0ELin1EEEEEEJNSN_6LambdaILl0EJNSM_IJNS0_9LambdaArgINS0_18lambda_arg_param_tELl0EEEEEEEEENSO_ILl2ENSP_10sequential8seq_execEJNS13_ILl1EJEEEEEENS13_ILl2EJNSM_IJNS14_INS0_16lambda_arg_seg_tELl0EEENS14_IS1D_Ll1EEEEEES17_EEEEEEEEEEEENS0_9LoopTypesINSM_IJvvvEEES1M_EEEEEEvT0_.uses_flat_scratch, 0
	.set _ZN4RAJA8internal22HipKernelLauncherFixedILi1024ENS0_8LoopDataIN4camp5tupleIJNS_4SpanINS_9Iterators16numeric_iteratorIiiPiEEiEESA_SA_EEENS4_IJdEEENS3_9resources2v13HipEJZ4mainEUlRdE1_Z4mainEUliiiSG_E1_Z4mainEUliiSG_E1_EEENS0_24HipStatementListExecutorISK_NS3_4listIJNS_9statement3ForILl1ENS_6policy3hip11hip_indexerINS_17iteration_mapping11StridedLoopILm0EEELNS_23kernel_sync_requirementE0EJNS_3hip11IndexGlobalILNS_9named_dimE0ELin1ELi0EEEEEEJNSO_ILl0ENSR_ISU_LSV_0EJNSX_ILSY_0ELi0ELin1EEEEEEJNSN_6LambdaILl0EJNSM_IJNS0_9LambdaArgINS0_18lambda_arg_param_tELl0EEEEEEEEENSO_ILl2ENSP_10sequential8seq_execEJNS13_ILl1EJEEEEEENS13_ILl2EJNSM_IJNS14_INS0_16lambda_arg_seg_tELl0EEENS14_IS1D_Ll1EEEEEES17_EEEEEEEEEEEENS0_9LoopTypesINSM_IJvvvEEES1M_EEEEEEvT0_.has_dyn_sized_stack, 0
	.set _ZN4RAJA8internal22HipKernelLauncherFixedILi1024ENS0_8LoopDataIN4camp5tupleIJNS_4SpanINS_9Iterators16numeric_iteratorIiiPiEEiEESA_SA_EEENS4_IJdEEENS3_9resources2v13HipEJZ4mainEUlRdE1_Z4mainEUliiiSG_E1_Z4mainEUliiSG_E1_EEENS0_24HipStatementListExecutorISK_NS3_4listIJNS_9statement3ForILl1ENS_6policy3hip11hip_indexerINS_17iteration_mapping11StridedLoopILm0EEELNS_23kernel_sync_requirementE0EJNS_3hip11IndexGlobalILNS_9named_dimE0ELin1ELi0EEEEEEJNSO_ILl0ENSR_ISU_LSV_0EJNSX_ILSY_0ELi0ELin1EEEEEEJNSN_6LambdaILl0EJNSM_IJNS0_9LambdaArgINS0_18lambda_arg_param_tELl0EEEEEEEEENSO_ILl2ENSP_10sequential8seq_execEJNS13_ILl1EJEEEEEENS13_ILl2EJNSM_IJNS14_INS0_16lambda_arg_seg_tELl0EEENS14_IS1D_Ll1EEEEEES17_EEEEEEEEEEEENS0_9LoopTypesINSM_IJvvvEEES1M_EEEEEEvT0_.has_recursion, 0
	.set _ZN4RAJA8internal22HipKernelLauncherFixedILi1024ENS0_8LoopDataIN4camp5tupleIJNS_4SpanINS_9Iterators16numeric_iteratorIiiPiEEiEESA_SA_EEENS4_IJdEEENS3_9resources2v13HipEJZ4mainEUlRdE1_Z4mainEUliiiSG_E1_Z4mainEUliiSG_E1_EEENS0_24HipStatementListExecutorISK_NS3_4listIJNS_9statement3ForILl1ENS_6policy3hip11hip_indexerINS_17iteration_mapping11StridedLoopILm0EEELNS_23kernel_sync_requirementE0EJNS_3hip11IndexGlobalILNS_9named_dimE0ELin1ELi0EEEEEEJNSO_ILl0ENSR_ISU_LSV_0EJNSX_ILSY_0ELi0ELin1EEEEEEJNSN_6LambdaILl0EJNSM_IJNS0_9LambdaArgINS0_18lambda_arg_param_tELl0EEEEEEEEENSO_ILl2ENSP_10sequential8seq_execEJNS13_ILl1EJEEEEEENS13_ILl2EJNSM_IJNS14_INS0_16lambda_arg_seg_tELl0EEENS14_IS1D_Ll1EEEEEES17_EEEEEEEEEEEENS0_9LoopTypesINSM_IJvvvEEES1M_EEEEEEvT0_.has_indirect_call, 0
	.section	.AMDGPU.csdata,"",@progbits
; Kernel info:
; codeLenInByte = 544
; TotalNumSgprs: 41
; NumVgprs: 14
; ScratchSize: 0
; MemoryBound: 0
; FloatMode: 240
; IeeeMode: 1
; LDSByteSize: 0 bytes/workgroup (compile time only)
; SGPRBlocks: 0
; VGPRBlocks: 0
; NumSGPRsForWavesPerEU: 41
; NumVGPRsForWavesPerEU: 14
; NamedBarCnt: 0
; Occupancy: 16
; WaveLimiterHint : 0
; COMPUTE_PGM_RSRC2:SCRATCH_EN: 0
; COMPUTE_PGM_RSRC2:USER_SGPR: 2
; COMPUTE_PGM_RSRC2:TRAP_HANDLER: 0
; COMPUTE_PGM_RSRC2:TGID_X_EN: 1
; COMPUTE_PGM_RSRC2:TGID_Y_EN: 0
; COMPUTE_PGM_RSRC2:TGID_Z_EN: 0
; COMPUTE_PGM_RSRC2:TIDIG_COMP_CNT: 0
	.section	.text._ZN4RAJA8internal22HipKernelLauncherFixedILi1024ENS0_8LoopDataIN4camp5tupleIJNS_4SpanINS_9Iterators16numeric_iteratorIiiPiEEiEESA_SA_EEENS4_IJdEEENS3_9resources2v13HipEJZ4mainEUlRdE2_Z4mainEUliiiSG_E2_Z4mainEUliiSG_E2_EEENS0_24HipStatementListExecutorISK_NS3_4listIJNS_9statement4TileILl1ENS_10tile_fixedILl16EEENS_6policy3hip11hip_indexerINS_17iteration_mapping11StridedLoopILm0EEELNS_23kernel_sync_requirementE0EJNS_3hip11IndexGlobalILNS_9named_dimE1ELin1ELi0EEEEEEJNSO_ILl0ESQ_NST_ISW_LSX_0EJNSZ_ILS10_0ELin1ELi0EEEEEEJNSN_3ForILl1ENST_ISW_LSX_0EJNSZ_ILS10_1ELi0ELin1EEEEEEJNS15_ILl0ENST_ISW_LSX_0EJNSZ_ILS10_0ELi0ELin1EEEEEEJNSN_6LambdaILl0EJNSM_IJNS0_9LambdaArgINS0_18lambda_arg_param_tELl0EEEEEEEEENS15_ILl2ENSR_10sequential8seq_execEJNS1A_ILl1EJNSM_IJNS1B_INS0_16lambda_arg_seg_tELl0EEENS1B_IS1I_Ll1EEENS1B_IS1I_Ll2EEEEEES1E_EEEEEENS1A_ILl2EJNSM_IJS1J_S1K_EEES1E_EEEEEEEEEEEEEEEEEENS0_9LoopTypesINSM_IJvvvEEES1X_EEEEEEvT0_,"axG",@progbits,_ZN4RAJA8internal22HipKernelLauncherFixedILi1024ENS0_8LoopDataIN4camp5tupleIJNS_4SpanINS_9Iterators16numeric_iteratorIiiPiEEiEESA_SA_EEENS4_IJdEEENS3_9resources2v13HipEJZ4mainEUlRdE2_Z4mainEUliiiSG_E2_Z4mainEUliiSG_E2_EEENS0_24HipStatementListExecutorISK_NS3_4listIJNS_9statement4TileILl1ENS_10tile_fixedILl16EEENS_6policy3hip11hip_indexerINS_17iteration_mapping11StridedLoopILm0EEELNS_23kernel_sync_requirementE0EJNS_3hip11IndexGlobalILNS_9named_dimE1ELin1ELi0EEEEEEJNSO_ILl0ESQ_NST_ISW_LSX_0EJNSZ_ILS10_0ELin1ELi0EEEEEEJNSN_3ForILl1ENST_ISW_LSX_0EJNSZ_ILS10_1ELi0ELin1EEEEEEJNS15_ILl0ENST_ISW_LSX_0EJNSZ_ILS10_0ELi0ELin1EEEEEEJNSN_6LambdaILl0EJNSM_IJNS0_9LambdaArgINS0_18lambda_arg_param_tELl0EEEEEEEEENS15_ILl2ENSR_10sequential8seq_execEJNS1A_ILl1EJNSM_IJNS1B_INS0_16lambda_arg_seg_tELl0EEENS1B_IS1I_Ll1EEENS1B_IS1I_Ll2EEEEEES1E_EEEEEENS1A_ILl2EJNSM_IJS1J_S1K_EEES1E_EEEEEEEEEEEEEEEEEENS0_9LoopTypesINSM_IJvvvEEES1X_EEEEEEvT0_,comdat
	.globl	_ZN4RAJA8internal22HipKernelLauncherFixedILi1024ENS0_8LoopDataIN4camp5tupleIJNS_4SpanINS_9Iterators16numeric_iteratorIiiPiEEiEESA_SA_EEENS4_IJdEEENS3_9resources2v13HipEJZ4mainEUlRdE2_Z4mainEUliiiSG_E2_Z4mainEUliiSG_E2_EEENS0_24HipStatementListExecutorISK_NS3_4listIJNS_9statement4TileILl1ENS_10tile_fixedILl16EEENS_6policy3hip11hip_indexerINS_17iteration_mapping11StridedLoopILm0EEELNS_23kernel_sync_requirementE0EJNS_3hip11IndexGlobalILNS_9named_dimE1ELin1ELi0EEEEEEJNSO_ILl0ESQ_NST_ISW_LSX_0EJNSZ_ILS10_0ELin1ELi0EEEEEEJNSN_3ForILl1ENST_ISW_LSX_0EJNSZ_ILS10_1ELi0ELin1EEEEEEJNS15_ILl0ENST_ISW_LSX_0EJNSZ_ILS10_0ELi0ELin1EEEEEEJNSN_6LambdaILl0EJNSM_IJNS0_9LambdaArgINS0_18lambda_arg_param_tELl0EEEEEEEEENS15_ILl2ENSR_10sequential8seq_execEJNS1A_ILl1EJNSM_IJNS1B_INS0_16lambda_arg_seg_tELl0EEENS1B_IS1I_Ll1EEENS1B_IS1I_Ll2EEEEEES1E_EEEEEENS1A_ILl2EJNSM_IJS1J_S1K_EEES1E_EEEEEEEEEEEEEEEEEENS0_9LoopTypesINSM_IJvvvEEES1X_EEEEEEvT0_ ; -- Begin function _ZN4RAJA8internal22HipKernelLauncherFixedILi1024ENS0_8LoopDataIN4camp5tupleIJNS_4SpanINS_9Iterators16numeric_iteratorIiiPiEEiEESA_SA_EEENS4_IJdEEENS3_9resources2v13HipEJZ4mainEUlRdE2_Z4mainEUliiiSG_E2_Z4mainEUliiSG_E2_EEENS0_24HipStatementListExecutorISK_NS3_4listIJNS_9statement4TileILl1ENS_10tile_fixedILl16EEENS_6policy3hip11hip_indexerINS_17iteration_mapping11StridedLoopILm0EEELNS_23kernel_sync_requirementE0EJNS_3hip11IndexGlobalILNS_9named_dimE1ELin1ELi0EEEEEEJNSO_ILl0ESQ_NST_ISW_LSX_0EJNSZ_ILS10_0ELin1ELi0EEEEEEJNSN_3ForILl1ENST_ISW_LSX_0EJNSZ_ILS10_1ELi0ELin1EEEEEEJNS15_ILl0ENST_ISW_LSX_0EJNSZ_ILS10_0ELi0ELin1EEEEEEJNSN_6LambdaILl0EJNSM_IJNS0_9LambdaArgINS0_18lambda_arg_param_tELl0EEEEEEEEENS15_ILl2ENSR_10sequential8seq_execEJNS1A_ILl1EJNSM_IJNS1B_INS0_16lambda_arg_seg_tELl0EEENS1B_IS1I_Ll1EEENS1B_IS1I_Ll2EEEEEES1E_EEEEEENS1A_ILl2EJNSM_IJS1J_S1K_EEES1E_EEEEEEEEEEEEEEEEEENS0_9LoopTypesINSM_IJvvvEEES1X_EEEEEEvT0_
	.p2align	8
	.type	_ZN4RAJA8internal22HipKernelLauncherFixedILi1024ENS0_8LoopDataIN4camp5tupleIJNS_4SpanINS_9Iterators16numeric_iteratorIiiPiEEiEESA_SA_EEENS4_IJdEEENS3_9resources2v13HipEJZ4mainEUlRdE2_Z4mainEUliiiSG_E2_Z4mainEUliiSG_E2_EEENS0_24HipStatementListExecutorISK_NS3_4listIJNS_9statement4TileILl1ENS_10tile_fixedILl16EEENS_6policy3hip11hip_indexerINS_17iteration_mapping11StridedLoopILm0EEELNS_23kernel_sync_requirementE0EJNS_3hip11IndexGlobalILNS_9named_dimE1ELin1ELi0EEEEEEJNSO_ILl0ESQ_NST_ISW_LSX_0EJNSZ_ILS10_0ELin1ELi0EEEEEEJNSN_3ForILl1ENST_ISW_LSX_0EJNSZ_ILS10_1ELi0ELin1EEEEEEJNS15_ILl0ENST_ISW_LSX_0EJNSZ_ILS10_0ELi0ELin1EEEEEEJNSN_6LambdaILl0EJNSM_IJNS0_9LambdaArgINS0_18lambda_arg_param_tELl0EEEEEEEEENS15_ILl2ENSR_10sequential8seq_execEJNS1A_ILl1EJNSM_IJNS1B_INS0_16lambda_arg_seg_tELl0EEENS1B_IS1I_Ll1EEENS1B_IS1I_Ll2EEEEEES1E_EEEEEENS1A_ILl2EJNSM_IJS1J_S1K_EEES1E_EEEEEEEEEEEEEEEEEENS0_9LoopTypesINSM_IJvvvEEES1X_EEEEEEvT0_,@function
_ZN4RAJA8internal22HipKernelLauncherFixedILi1024ENS0_8LoopDataIN4camp5tupleIJNS_4SpanINS_9Iterators16numeric_iteratorIiiPiEEiEESA_SA_EEENS4_IJdEEENS3_9resources2v13HipEJZ4mainEUlRdE2_Z4mainEUliiiSG_E2_Z4mainEUliiSG_E2_EEENS0_24HipStatementListExecutorISK_NS3_4listIJNS_9statement4TileILl1ENS_10tile_fixedILl16EEENS_6policy3hip11hip_indexerINS_17iteration_mapping11StridedLoopILm0EEELNS_23kernel_sync_requirementE0EJNS_3hip11IndexGlobalILNS_9named_dimE1ELin1ELi0EEEEEEJNSO_ILl0ESQ_NST_ISW_LSX_0EJNSZ_ILS10_0ELin1ELi0EEEEEEJNSN_3ForILl1ENST_ISW_LSX_0EJNSZ_ILS10_1ELi0ELin1EEEEEEJNS15_ILl0ENST_ISW_LSX_0EJNSZ_ILS10_0ELi0ELin1EEEEEEJNSN_6LambdaILl0EJNSM_IJNS0_9LambdaArgINS0_18lambda_arg_param_tELl0EEEEEEEEENS15_ILl2ENSR_10sequential8seq_execEJNS1A_ILl1EJNSM_IJNS1B_INS0_16lambda_arg_seg_tELl0EEENS1B_IS1I_Ll1EEENS1B_IS1I_Ll2EEEEEES1E_EEEEEENS1A_ILl2EJNSM_IJS1J_S1K_EEES1E_EEEEEEEEEEEEEEEEEENS0_9LoopTypesINSM_IJvvvEEES1X_EEEEEEvT0_: ; @_ZN4RAJA8internal22HipKernelLauncherFixedILi1024ENS0_8LoopDataIN4camp5tupleIJNS_4SpanINS_9Iterators16numeric_iteratorIiiPiEEiEESA_SA_EEENS4_IJdEEENS3_9resources2v13HipEJZ4mainEUlRdE2_Z4mainEUliiiSG_E2_Z4mainEUliiSG_E2_EEENS0_24HipStatementListExecutorISK_NS3_4listIJNS_9statement4TileILl1ENS_10tile_fixedILl16EEENS_6policy3hip11hip_indexerINS_17iteration_mapping11StridedLoopILm0EEELNS_23kernel_sync_requirementE0EJNS_3hip11IndexGlobalILNS_9named_dimE1ELin1ELi0EEEEEEJNSO_ILl0ESQ_NST_ISW_LSX_0EJNSZ_ILS10_0ELin1ELi0EEEEEEJNSN_3ForILl1ENST_ISW_LSX_0EJNSZ_ILS10_1ELi0ELin1EEEEEEJNS15_ILl0ENST_ISW_LSX_0EJNSZ_ILS10_0ELi0ELin1EEEEEEJNSN_6LambdaILl0EJNSM_IJNS0_9LambdaArgINS0_18lambda_arg_param_tELl0EEEEEEEEENS15_ILl2ENSR_10sequential8seq_execEJNS1A_ILl1EJNSM_IJNS1B_INS0_16lambda_arg_seg_tELl0EEENS1B_IS1I_Ll1EEENS1B_IS1I_Ll2EEEEEES1E_EEEEEENS1A_ILl2EJNSM_IJS1J_S1K_EEES1E_EEEEEEEEEEEEEEEEEENS0_9LoopTypesINSM_IJvvvEEES1X_EEEEEEvT0_
; %bb.0:
	s_load_b64 s[2:3], s[0:1], 0x8
	s_bfe_u32 s4, ttmp6, 0x40010
	s_bfe_u32 s5, ttmp6, 0x40004
	s_add_co_i32 s4, s4, 1
	s_getreg_b32 s18, hwreg(HW_REG_IB_STS2, 6, 4)
	s_mul_i32 s4, ttmp7, s4
	s_mov_b32 s27, 0
	s_add_co_i32 s5, s5, s4
	s_wait_kmcnt 0x0
	s_sub_co_i32 s28, s3, s2
	s_cmp_eq_u32 s18, 0
	s_cselect_b32 s4, ttmp7, s5
	s_delay_alu instid0(SALU_CYCLE_1) | instskip(NEXT) | instid1(SALU_CYCLE_1)
	s_lshl_b32 s29, s4, 4
	s_cmp_ge_i32 s29, s28
	s_cbranch_scc1 .LBB4_16
; %bb.1:
	s_clause 0x6
	s_load_b64 s[20:21], s[0:1], 0x10
	s_load_b64 s[22:23], s[0:1], 0x120
	s_load_b128 s[4:7], s[0:1], 0xd8
	s_load_b64 s[24:25], s[0:1], 0x30
	s_load_b64 s[12:13], s[0:1], 0x0
	s_load_b128 s[8:11], s[0:1], 0x48
	s_load_b64 s[38:39], s[0:1], 0x78
	s_bfe_u32 s16, ttmp6, 0x4000c
	s_clause 0x1
	s_load_b128 s[40:43], s[0:1], 0x90
	s_load_b64 s[14:15], s[0:1], 0xc0
	s_add_co_i32 s16, s16, 1
	s_and_b32 s19, ttmp6, 15
	s_mul_i32 s26, ttmp9, s16
	s_add_nc_u64 s[16:17], s[0:1], 0x120
	s_add_co_i32 s19, s19, s26
	v_bfe_u32 v10, v0, 10, 10
	v_and_b32_e32 v11, 0x3ff, v0
	s_delay_alu instid0(VALU_DEP_2)
	v_add3_u32 v13, s2, s29, v10
	s_wait_kmcnt 0x0
	s_ashr_i32 s1, s20, 31
	s_lshl_b32 s30, s23, 4
	s_cmp_eq_u32 s18, 0
	s_cselect_b32 s0, ttmp9, s19
	s_lshl_b32 s31, s22, 4
	s_lshl_b32 s33, s0, 4
	s_cmp_lt_u32 s0, s22
	s_mov_b32 s0, s20
	s_cselect_b32 s26, 12, 18
	s_sub_co_i32 s34, s13, s12
	s_mul_u64 s[18:19], s[40:41], s[0:1]
	s_cmp_lt_i32 s33, s34
	s_mul_u64 s[0:1], s[10:11], s[0:1]
	s_cselect_b32 s35, -1, 0
	s_sub_co_i32 s36, s21, s20
	v_add3_u32 v12, s12, s33, v11
	s_cmp_gt_i32 s36, 0
	s_add_nc_u64 s[26:27], s[16:17], s[26:27]
	s_cselect_b32 s37, -1, 0
	s_lshl_b64 s[20:21], s[18:19], 3
	s_lshl_b64 s[0:1], s[0:1], 3
	;; [unrolled: 1-line block ×3, first 2 shown]
	s_add_nc_u64 s[20:21], s[38:39], s[20:21]
	s_lshl_b64 s[22:23], s[40:41], 3
	s_add_nc_u64 s[24:25], s[24:25], s[0:1]
	s_lshl_b64 s[8:9], s[8:9], 3
	s_lshl_b64 s[10:11], s[10:11], 3
	s_branch .LBB4_3
.LBB4_2:                                ;   in Loop: Header=BB4_3 Depth=1
	v_add_nc_u32_e32 v13, s30, v13
	s_add_co_i32 s29, s29, s30
	s_delay_alu instid0(SALU_CYCLE_1)
	s_cmp_lt_i32 s29, s28
	s_cbranch_scc0 .LBB4_16
.LBB4_3:                                ; =>This Loop Header: Depth=1
                                        ;     Child Loop BB4_6 Depth 2
                                        ;       Child Loop BB4_9 Depth 3
                                        ;         Child Loop BB4_13 Depth 4
                                        ;           Child Loop BB4_15 Depth 5
	s_and_not1_b32 vcc_lo, exec_lo, s35
	s_cbranch_vccnz .LBB4_2
; %bb.4:                                ;   in Loop: Header=BB4_3 Depth=1
	s_wait_kmcnt 0x0
	s_load_u16 s38, s[16:17], 0xe
	s_add_co_i32 s39, s29, s2
	v_mov_b32_e32 v14, v12
	s_add_co_i32 s0, s39, 16
	s_mov_b32 s41, s33
	s_min_i32 s0, s0, s3
	s_delay_alu instid0(SALU_CYCLE_1) | instskip(NEXT) | instid1(SALU_CYCLE_1)
	s_sub_co_i32 s40, s0, s39
	v_cmp_gt_i32_e64 s0, s40, v10
	s_branch .LBB4_6
.LBB4_5:                                ;   in Loop: Header=BB4_6 Depth=2
	s_or_b32 exec_lo, exec_lo, s42
	v_add_nc_u32_e32 v14, s31, v14
	s_add_co_i32 s41, s41, s31
	s_delay_alu instid0(SALU_CYCLE_1)
	s_cmp_lt_i32 s41, s34
	s_cbranch_scc0 .LBB4_2
.LBB4_6:                                ;   Parent Loop BB4_3 Depth=1
                                        ; =>  This Loop Header: Depth=2
                                        ;       Child Loop BB4_9 Depth 3
                                        ;         Child Loop BB4_13 Depth 4
                                        ;           Child Loop BB4_15 Depth 5
	s_delay_alu instid0(VALU_DEP_1)
	s_and_saveexec_b32 s42, s0
	s_cbranch_execz .LBB4_5
; %bb.7:                                ;   in Loop: Header=BB4_6 Depth=2
	s_load_u16 s43, s[26:27], 0x0
	s_add_co_i32 s44, s41, s12
	v_dual_mov_b32 v15, v13 :: v_dual_mov_b32 v16, v10
	s_add_co_i32 s1, s44, 16
	s_mov_b32 s46, 0
	s_min_i32 s1, s1, s13
	s_delay_alu instid0(SALU_CYCLE_1) | instskip(NEXT) | instid1(SALU_CYCLE_1)
	s_sub_co_i32 s45, s1, s44
	v_cmp_gt_i32_e64 s1, s45, v11
	s_branch .LBB4_9
.LBB4_8:                                ;   in Loop: Header=BB4_9 Depth=3
	s_or_b32 exec_lo, exec_lo, s47
	s_wait_kmcnt 0x0
	v_dual_add_nc_u32 v16, s38, v16 :: v_dual_add_nc_u32 v15, s38, v15
	s_delay_alu instid0(VALU_DEP_1) | instskip(SKIP_1) | instid1(SALU_CYCLE_1)
	v_cmp_le_i32_e32 vcc_lo, s40, v16
	s_or_b32 s46, vcc_lo, s46
	s_and_not1_b32 exec_lo, exec_lo, s46
	s_cbranch_execz .LBB4_5
.LBB4_9:                                ;   Parent Loop BB4_3 Depth=1
                                        ;     Parent Loop BB4_6 Depth=2
                                        ; =>    This Loop Header: Depth=3
                                        ;         Child Loop BB4_13 Depth 4
                                        ;           Child Loop BB4_15 Depth 5
	s_delay_alu instid0(VALU_DEP_1)
	s_and_saveexec_b32 s47, s1
	s_cbranch_execz .LBB4_8
; %bb.10:                               ;   in Loop: Header=BB4_9 Depth=3
	v_dual_add_nc_u32 v0, s39, v16 :: v_dual_ashrrev_i32 v4, 31, v15
	v_mov_b32_e32 v18, v11
	s_mov_b32 s48, 0
	s_delay_alu instid0(VALU_DEP_2) | instskip(NEXT) | instid1(VALU_DEP_1)
	v_dual_mov_b32 v17, v14 :: v_dual_ashrrev_i32 v1, 31, v0
	v_mul_u64_e32 v[2:3], s[4:5], v[0:1]
	v_mad_nc_u64_u32 v[0:1], s8, v15, s[24:25]
	s_delay_alu instid0(VALU_DEP_1) | instskip(NEXT) | instid1(VALU_DEP_1)
	v_mad_u32 v1, s9, v15, v1
	v_mad_u32 v1, s8, v4, v1
	s_delay_alu instid0(VALU_DEP_4)
	v_lshl_add_u64 v[2:3], v[2:3], 3, s[14:15]
	s_branch .LBB4_13
.LBB4_11:                               ;   in Loop: Header=BB4_13 Depth=4
	v_mov_b64_e32 v[4:5], 0
.LBB4_12:                               ;   in Loop: Header=BB4_13 Depth=4
	s_wait_kmcnt 0x0
	v_dual_add_nc_u32 v6, s44, v18 :: v_dual_add_nc_u32 v18, s43, v18
	s_delay_alu instid0(VALU_DEP_1) | instskip(NEXT) | instid1(VALU_DEP_2)
	v_dual_add_nc_u32 v17, s43, v17 :: v_dual_ashrrev_i32 v7, 31, v6
	v_cmp_le_i32_e32 vcc_lo, s45, v18
	s_delay_alu instid0(VALU_DEP_2) | instskip(SKIP_1) | instid1(VALU_DEP_1)
	v_mul_u64_e32 v[6:7], s[6:7], v[6:7]
	s_or_b32 s48, vcc_lo, s48
	v_lshl_add_u64 v[6:7], v[6:7], 3, v[2:3]
	global_store_b64 v[6:7], v[4:5], off
	s_wait_xcnt 0x0
	s_and_not1_b32 exec_lo, exec_lo, s48
	s_cbranch_execz .LBB4_8
.LBB4_13:                               ;   Parent Loop BB4_3 Depth=1
                                        ;     Parent Loop BB4_6 Depth=2
                                        ;       Parent Loop BB4_9 Depth=3
                                        ; =>      This Loop Header: Depth=4
                                        ;           Child Loop BB4_15 Depth 5
	s_and_not1_b32 vcc_lo, exec_lo, s37
	s_cbranch_vccnz .LBB4_11
; %bb.14:                               ;   in Loop: Header=BB4_13 Depth=4
	v_mad_nc_u64_u32 v[6:7], s18, v17, s[20:21]
	v_ashrrev_i32_e32 v5, 31, v17
	s_delay_alu instid0(VALU_DEP_4) | instskip(SKIP_1) | instid1(VALU_DEP_3)
	v_mov_b64_e32 v[8:9], v[0:1]
	s_mov_b32 s49, 0
	v_mad_u32 v4, s19, v17, v7
	s_delay_alu instid0(VALU_DEP_1)
	v_mad_u32 v7, s18, v5, v4
	v_mov_b64_e32 v[4:5], 0
.LBB4_15:                               ;   Parent Loop BB4_3 Depth=1
                                        ;     Parent Loop BB4_6 Depth=2
                                        ;       Parent Loop BB4_9 Depth=3
                                        ;         Parent Loop BB4_13 Depth=4
                                        ; =>        This Inner Loop Header: Depth=5
	global_load_b64 v[20:21], v[8:9], off
	global_load_b64 v[22:23], v[6:7], off
	s_wait_xcnt 0x0
	v_add_nc_u64_e32 v[6:7], s[22:23], v[6:7]
	v_add_nc_u64_e32 v[8:9], s[10:11], v[8:9]
	s_add_co_i32 s49, s49, 1
	s_delay_alu instid0(SALU_CYCLE_1)
	s_cmp_lt_i32 s49, s36
	s_wait_loadcnt 0x0
	v_fmac_f64_e32 v[4:5], v[20:21], v[22:23]
	s_cbranch_scc1 .LBB4_15
	s_branch .LBB4_12
.LBB4_16:
	s_endpgm
	.section	.rodata,"a",@progbits
	.p2align	6, 0x0
	.amdhsa_kernel _ZN4RAJA8internal22HipKernelLauncherFixedILi1024ENS0_8LoopDataIN4camp5tupleIJNS_4SpanINS_9Iterators16numeric_iteratorIiiPiEEiEESA_SA_EEENS4_IJdEEENS3_9resources2v13HipEJZ4mainEUlRdE2_Z4mainEUliiiSG_E2_Z4mainEUliiSG_E2_EEENS0_24HipStatementListExecutorISK_NS3_4listIJNS_9statement4TileILl1ENS_10tile_fixedILl16EEENS_6policy3hip11hip_indexerINS_17iteration_mapping11StridedLoopILm0EEELNS_23kernel_sync_requirementE0EJNS_3hip11IndexGlobalILNS_9named_dimE1ELin1ELi0EEEEEEJNSO_ILl0ESQ_NST_ISW_LSX_0EJNSZ_ILS10_0ELin1ELi0EEEEEEJNSN_3ForILl1ENST_ISW_LSX_0EJNSZ_ILS10_1ELi0ELin1EEEEEEJNS15_ILl0ENST_ISW_LSX_0EJNSZ_ILS10_0ELi0ELin1EEEEEEJNSN_6LambdaILl0EJNSM_IJNS0_9LambdaArgINS0_18lambda_arg_param_tELl0EEEEEEEEENS15_ILl2ENSR_10sequential8seq_execEJNS1A_ILl1EJNSM_IJNS1B_INS0_16lambda_arg_seg_tELl0EEENS1B_IS1I_Ll1EEENS1B_IS1I_Ll2EEEEEES1E_EEEEEENS1A_ILl2EJNSM_IJS1J_S1K_EEES1E_EEEEEEEEEEEEEEEEEENS0_9LoopTypesINSM_IJvvvEEES1X_EEEEEEvT0_
		.amdhsa_group_segment_fixed_size 0
		.amdhsa_private_segment_fixed_size 0
		.amdhsa_kernarg_size 544
		.amdhsa_user_sgpr_count 2
		.amdhsa_user_sgpr_dispatch_ptr 0
		.amdhsa_user_sgpr_queue_ptr 0
		.amdhsa_user_sgpr_kernarg_segment_ptr 1
		.amdhsa_user_sgpr_dispatch_id 0
		.amdhsa_user_sgpr_kernarg_preload_length 0
		.amdhsa_user_sgpr_kernarg_preload_offset 0
		.amdhsa_user_sgpr_private_segment_size 0
		.amdhsa_wavefront_size32 1
		.amdhsa_uses_dynamic_stack 0
		.amdhsa_enable_private_segment 0
		.amdhsa_system_sgpr_workgroup_id_x 1
		.amdhsa_system_sgpr_workgroup_id_y 1
		.amdhsa_system_sgpr_workgroup_id_z 0
		.amdhsa_system_sgpr_workgroup_info 0
		.amdhsa_system_vgpr_workitem_id 1
		.amdhsa_next_free_vgpr 24
		.amdhsa_next_free_sgpr 50
		.amdhsa_named_barrier_count 0
		.amdhsa_reserve_vcc 1
		.amdhsa_float_round_mode_32 0
		.amdhsa_float_round_mode_16_64 0
		.amdhsa_float_denorm_mode_32 3
		.amdhsa_float_denorm_mode_16_64 3
		.amdhsa_fp16_overflow 0
		.amdhsa_memory_ordered 1
		.amdhsa_forward_progress 1
		.amdhsa_inst_pref_size 7
		.amdhsa_round_robin_scheduling 0
		.amdhsa_exception_fp_ieee_invalid_op 0
		.amdhsa_exception_fp_denorm_src 0
		.amdhsa_exception_fp_ieee_div_zero 0
		.amdhsa_exception_fp_ieee_overflow 0
		.amdhsa_exception_fp_ieee_underflow 0
		.amdhsa_exception_fp_ieee_inexact 0
		.amdhsa_exception_int_div_zero 0
	.end_amdhsa_kernel
	.section	.text._ZN4RAJA8internal22HipKernelLauncherFixedILi1024ENS0_8LoopDataIN4camp5tupleIJNS_4SpanINS_9Iterators16numeric_iteratorIiiPiEEiEESA_SA_EEENS4_IJdEEENS3_9resources2v13HipEJZ4mainEUlRdE2_Z4mainEUliiiSG_E2_Z4mainEUliiSG_E2_EEENS0_24HipStatementListExecutorISK_NS3_4listIJNS_9statement4TileILl1ENS_10tile_fixedILl16EEENS_6policy3hip11hip_indexerINS_17iteration_mapping11StridedLoopILm0EEELNS_23kernel_sync_requirementE0EJNS_3hip11IndexGlobalILNS_9named_dimE1ELin1ELi0EEEEEEJNSO_ILl0ESQ_NST_ISW_LSX_0EJNSZ_ILS10_0ELin1ELi0EEEEEEJNSN_3ForILl1ENST_ISW_LSX_0EJNSZ_ILS10_1ELi0ELin1EEEEEEJNS15_ILl0ENST_ISW_LSX_0EJNSZ_ILS10_0ELi0ELin1EEEEEEJNSN_6LambdaILl0EJNSM_IJNS0_9LambdaArgINS0_18lambda_arg_param_tELl0EEEEEEEEENS15_ILl2ENSR_10sequential8seq_execEJNS1A_ILl1EJNSM_IJNS1B_INS0_16lambda_arg_seg_tELl0EEENS1B_IS1I_Ll1EEENS1B_IS1I_Ll2EEEEEES1E_EEEEEENS1A_ILl2EJNSM_IJS1J_S1K_EEES1E_EEEEEEEEEEEEEEEEEENS0_9LoopTypesINSM_IJvvvEEES1X_EEEEEEvT0_,"axG",@progbits,_ZN4RAJA8internal22HipKernelLauncherFixedILi1024ENS0_8LoopDataIN4camp5tupleIJNS_4SpanINS_9Iterators16numeric_iteratorIiiPiEEiEESA_SA_EEENS4_IJdEEENS3_9resources2v13HipEJZ4mainEUlRdE2_Z4mainEUliiiSG_E2_Z4mainEUliiSG_E2_EEENS0_24HipStatementListExecutorISK_NS3_4listIJNS_9statement4TileILl1ENS_10tile_fixedILl16EEENS_6policy3hip11hip_indexerINS_17iteration_mapping11StridedLoopILm0EEELNS_23kernel_sync_requirementE0EJNS_3hip11IndexGlobalILNS_9named_dimE1ELin1ELi0EEEEEEJNSO_ILl0ESQ_NST_ISW_LSX_0EJNSZ_ILS10_0ELin1ELi0EEEEEEJNSN_3ForILl1ENST_ISW_LSX_0EJNSZ_ILS10_1ELi0ELin1EEEEEEJNS15_ILl0ENST_ISW_LSX_0EJNSZ_ILS10_0ELi0ELin1EEEEEEJNSN_6LambdaILl0EJNSM_IJNS0_9LambdaArgINS0_18lambda_arg_param_tELl0EEEEEEEEENS15_ILl2ENSR_10sequential8seq_execEJNS1A_ILl1EJNSM_IJNS1B_INS0_16lambda_arg_seg_tELl0EEENS1B_IS1I_Ll1EEENS1B_IS1I_Ll2EEEEEES1E_EEEEEENS1A_ILl2EJNSM_IJS1J_S1K_EEES1E_EEEEEEEEEEEEEEEEEENS0_9LoopTypesINSM_IJvvvEEES1X_EEEEEEvT0_,comdat
.Lfunc_end4:
	.size	_ZN4RAJA8internal22HipKernelLauncherFixedILi1024ENS0_8LoopDataIN4camp5tupleIJNS_4SpanINS_9Iterators16numeric_iteratorIiiPiEEiEESA_SA_EEENS4_IJdEEENS3_9resources2v13HipEJZ4mainEUlRdE2_Z4mainEUliiiSG_E2_Z4mainEUliiSG_E2_EEENS0_24HipStatementListExecutorISK_NS3_4listIJNS_9statement4TileILl1ENS_10tile_fixedILl16EEENS_6policy3hip11hip_indexerINS_17iteration_mapping11StridedLoopILm0EEELNS_23kernel_sync_requirementE0EJNS_3hip11IndexGlobalILNS_9named_dimE1ELin1ELi0EEEEEEJNSO_ILl0ESQ_NST_ISW_LSX_0EJNSZ_ILS10_0ELin1ELi0EEEEEEJNSN_3ForILl1ENST_ISW_LSX_0EJNSZ_ILS10_1ELi0ELin1EEEEEEJNS15_ILl0ENST_ISW_LSX_0EJNSZ_ILS10_0ELi0ELin1EEEEEEJNSN_6LambdaILl0EJNSM_IJNS0_9LambdaArgINS0_18lambda_arg_param_tELl0EEEEEEEEENS15_ILl2ENSR_10sequential8seq_execEJNS1A_ILl1EJNSM_IJNS1B_INS0_16lambda_arg_seg_tELl0EEENS1B_IS1I_Ll1EEENS1B_IS1I_Ll2EEEEEES1E_EEEEEENS1A_ILl2EJNSM_IJS1J_S1K_EEES1E_EEEEEEEEEEEEEEEEEENS0_9LoopTypesINSM_IJvvvEEES1X_EEEEEEvT0_, .Lfunc_end4-_ZN4RAJA8internal22HipKernelLauncherFixedILi1024ENS0_8LoopDataIN4camp5tupleIJNS_4SpanINS_9Iterators16numeric_iteratorIiiPiEEiEESA_SA_EEENS4_IJdEEENS3_9resources2v13HipEJZ4mainEUlRdE2_Z4mainEUliiiSG_E2_Z4mainEUliiSG_E2_EEENS0_24HipStatementListExecutorISK_NS3_4listIJNS_9statement4TileILl1ENS_10tile_fixedILl16EEENS_6policy3hip11hip_indexerINS_17iteration_mapping11StridedLoopILm0EEELNS_23kernel_sync_requirementE0EJNS_3hip11IndexGlobalILNS_9named_dimE1ELin1ELi0EEEEEEJNSO_ILl0ESQ_NST_ISW_LSX_0EJNSZ_ILS10_0ELin1ELi0EEEEEEJNSN_3ForILl1ENST_ISW_LSX_0EJNSZ_ILS10_1ELi0ELin1EEEEEEJNS15_ILl0ENST_ISW_LSX_0EJNSZ_ILS10_0ELi0ELin1EEEEEEJNSN_6LambdaILl0EJNSM_IJNS0_9LambdaArgINS0_18lambda_arg_param_tELl0EEEEEEEEENS15_ILl2ENSR_10sequential8seq_execEJNS1A_ILl1EJNSM_IJNS1B_INS0_16lambda_arg_seg_tELl0EEENS1B_IS1I_Ll1EEENS1B_IS1I_Ll2EEEEEES1E_EEEEEENS1A_ILl2EJNSM_IJS1J_S1K_EEES1E_EEEEEEEEEEEEEEEEEENS0_9LoopTypesINSM_IJvvvEEES1X_EEEEEEvT0_
                                        ; -- End function
	.set _ZN4RAJA8internal22HipKernelLauncherFixedILi1024ENS0_8LoopDataIN4camp5tupleIJNS_4SpanINS_9Iterators16numeric_iteratorIiiPiEEiEESA_SA_EEENS4_IJdEEENS3_9resources2v13HipEJZ4mainEUlRdE2_Z4mainEUliiiSG_E2_Z4mainEUliiSG_E2_EEENS0_24HipStatementListExecutorISK_NS3_4listIJNS_9statement4TileILl1ENS_10tile_fixedILl16EEENS_6policy3hip11hip_indexerINS_17iteration_mapping11StridedLoopILm0EEELNS_23kernel_sync_requirementE0EJNS_3hip11IndexGlobalILNS_9named_dimE1ELin1ELi0EEEEEEJNSO_ILl0ESQ_NST_ISW_LSX_0EJNSZ_ILS10_0ELin1ELi0EEEEEEJNSN_3ForILl1ENST_ISW_LSX_0EJNSZ_ILS10_1ELi0ELin1EEEEEEJNS15_ILl0ENST_ISW_LSX_0EJNSZ_ILS10_0ELi0ELin1EEEEEEJNSN_6LambdaILl0EJNSM_IJNS0_9LambdaArgINS0_18lambda_arg_param_tELl0EEEEEEEEENS15_ILl2ENSR_10sequential8seq_execEJNS1A_ILl1EJNSM_IJNS1B_INS0_16lambda_arg_seg_tELl0EEENS1B_IS1I_Ll1EEENS1B_IS1I_Ll2EEEEEES1E_EEEEEENS1A_ILl2EJNSM_IJS1J_S1K_EEES1E_EEEEEEEEEEEEEEEEEENS0_9LoopTypesINSM_IJvvvEEES1X_EEEEEEvT0_.num_vgpr, 24
	.set _ZN4RAJA8internal22HipKernelLauncherFixedILi1024ENS0_8LoopDataIN4camp5tupleIJNS_4SpanINS_9Iterators16numeric_iteratorIiiPiEEiEESA_SA_EEENS4_IJdEEENS3_9resources2v13HipEJZ4mainEUlRdE2_Z4mainEUliiiSG_E2_Z4mainEUliiSG_E2_EEENS0_24HipStatementListExecutorISK_NS3_4listIJNS_9statement4TileILl1ENS_10tile_fixedILl16EEENS_6policy3hip11hip_indexerINS_17iteration_mapping11StridedLoopILm0EEELNS_23kernel_sync_requirementE0EJNS_3hip11IndexGlobalILNS_9named_dimE1ELin1ELi0EEEEEEJNSO_ILl0ESQ_NST_ISW_LSX_0EJNSZ_ILS10_0ELin1ELi0EEEEEEJNSN_3ForILl1ENST_ISW_LSX_0EJNSZ_ILS10_1ELi0ELin1EEEEEEJNS15_ILl0ENST_ISW_LSX_0EJNSZ_ILS10_0ELi0ELin1EEEEEEJNSN_6LambdaILl0EJNSM_IJNS0_9LambdaArgINS0_18lambda_arg_param_tELl0EEEEEEEEENS15_ILl2ENSR_10sequential8seq_execEJNS1A_ILl1EJNSM_IJNS1B_INS0_16lambda_arg_seg_tELl0EEENS1B_IS1I_Ll1EEENS1B_IS1I_Ll2EEEEEES1E_EEEEEENS1A_ILl2EJNSM_IJS1J_S1K_EEES1E_EEEEEEEEEEEEEEEEEENS0_9LoopTypesINSM_IJvvvEEES1X_EEEEEEvT0_.num_agpr, 0
	.set _ZN4RAJA8internal22HipKernelLauncherFixedILi1024ENS0_8LoopDataIN4camp5tupleIJNS_4SpanINS_9Iterators16numeric_iteratorIiiPiEEiEESA_SA_EEENS4_IJdEEENS3_9resources2v13HipEJZ4mainEUlRdE2_Z4mainEUliiiSG_E2_Z4mainEUliiSG_E2_EEENS0_24HipStatementListExecutorISK_NS3_4listIJNS_9statement4TileILl1ENS_10tile_fixedILl16EEENS_6policy3hip11hip_indexerINS_17iteration_mapping11StridedLoopILm0EEELNS_23kernel_sync_requirementE0EJNS_3hip11IndexGlobalILNS_9named_dimE1ELin1ELi0EEEEEEJNSO_ILl0ESQ_NST_ISW_LSX_0EJNSZ_ILS10_0ELin1ELi0EEEEEEJNSN_3ForILl1ENST_ISW_LSX_0EJNSZ_ILS10_1ELi0ELin1EEEEEEJNS15_ILl0ENST_ISW_LSX_0EJNSZ_ILS10_0ELi0ELin1EEEEEEJNSN_6LambdaILl0EJNSM_IJNS0_9LambdaArgINS0_18lambda_arg_param_tELl0EEEEEEEEENS15_ILl2ENSR_10sequential8seq_execEJNS1A_ILl1EJNSM_IJNS1B_INS0_16lambda_arg_seg_tELl0EEENS1B_IS1I_Ll1EEENS1B_IS1I_Ll2EEEEEES1E_EEEEEENS1A_ILl2EJNSM_IJS1J_S1K_EEES1E_EEEEEEEEEEEEEEEEEENS0_9LoopTypesINSM_IJvvvEEES1X_EEEEEEvT0_.numbered_sgpr, 50
	.set _ZN4RAJA8internal22HipKernelLauncherFixedILi1024ENS0_8LoopDataIN4camp5tupleIJNS_4SpanINS_9Iterators16numeric_iteratorIiiPiEEiEESA_SA_EEENS4_IJdEEENS3_9resources2v13HipEJZ4mainEUlRdE2_Z4mainEUliiiSG_E2_Z4mainEUliiSG_E2_EEENS0_24HipStatementListExecutorISK_NS3_4listIJNS_9statement4TileILl1ENS_10tile_fixedILl16EEENS_6policy3hip11hip_indexerINS_17iteration_mapping11StridedLoopILm0EEELNS_23kernel_sync_requirementE0EJNS_3hip11IndexGlobalILNS_9named_dimE1ELin1ELi0EEEEEEJNSO_ILl0ESQ_NST_ISW_LSX_0EJNSZ_ILS10_0ELin1ELi0EEEEEEJNSN_3ForILl1ENST_ISW_LSX_0EJNSZ_ILS10_1ELi0ELin1EEEEEEJNS15_ILl0ENST_ISW_LSX_0EJNSZ_ILS10_0ELi0ELin1EEEEEEJNSN_6LambdaILl0EJNSM_IJNS0_9LambdaArgINS0_18lambda_arg_param_tELl0EEEEEEEEENS15_ILl2ENSR_10sequential8seq_execEJNS1A_ILl1EJNSM_IJNS1B_INS0_16lambda_arg_seg_tELl0EEENS1B_IS1I_Ll1EEENS1B_IS1I_Ll2EEEEEES1E_EEEEEENS1A_ILl2EJNSM_IJS1J_S1K_EEES1E_EEEEEEEEEEEEEEEEEENS0_9LoopTypesINSM_IJvvvEEES1X_EEEEEEvT0_.num_named_barrier, 0
	.set _ZN4RAJA8internal22HipKernelLauncherFixedILi1024ENS0_8LoopDataIN4camp5tupleIJNS_4SpanINS_9Iterators16numeric_iteratorIiiPiEEiEESA_SA_EEENS4_IJdEEENS3_9resources2v13HipEJZ4mainEUlRdE2_Z4mainEUliiiSG_E2_Z4mainEUliiSG_E2_EEENS0_24HipStatementListExecutorISK_NS3_4listIJNS_9statement4TileILl1ENS_10tile_fixedILl16EEENS_6policy3hip11hip_indexerINS_17iteration_mapping11StridedLoopILm0EEELNS_23kernel_sync_requirementE0EJNS_3hip11IndexGlobalILNS_9named_dimE1ELin1ELi0EEEEEEJNSO_ILl0ESQ_NST_ISW_LSX_0EJNSZ_ILS10_0ELin1ELi0EEEEEEJNSN_3ForILl1ENST_ISW_LSX_0EJNSZ_ILS10_1ELi0ELin1EEEEEEJNS15_ILl0ENST_ISW_LSX_0EJNSZ_ILS10_0ELi0ELin1EEEEEEJNSN_6LambdaILl0EJNSM_IJNS0_9LambdaArgINS0_18lambda_arg_param_tELl0EEEEEEEEENS15_ILl2ENSR_10sequential8seq_execEJNS1A_ILl1EJNSM_IJNS1B_INS0_16lambda_arg_seg_tELl0EEENS1B_IS1I_Ll1EEENS1B_IS1I_Ll2EEEEEES1E_EEEEEENS1A_ILl2EJNSM_IJS1J_S1K_EEES1E_EEEEEEEEEEEEEEEEEENS0_9LoopTypesINSM_IJvvvEEES1X_EEEEEEvT0_.private_seg_size, 0
	.set _ZN4RAJA8internal22HipKernelLauncherFixedILi1024ENS0_8LoopDataIN4camp5tupleIJNS_4SpanINS_9Iterators16numeric_iteratorIiiPiEEiEESA_SA_EEENS4_IJdEEENS3_9resources2v13HipEJZ4mainEUlRdE2_Z4mainEUliiiSG_E2_Z4mainEUliiSG_E2_EEENS0_24HipStatementListExecutorISK_NS3_4listIJNS_9statement4TileILl1ENS_10tile_fixedILl16EEENS_6policy3hip11hip_indexerINS_17iteration_mapping11StridedLoopILm0EEELNS_23kernel_sync_requirementE0EJNS_3hip11IndexGlobalILNS_9named_dimE1ELin1ELi0EEEEEEJNSO_ILl0ESQ_NST_ISW_LSX_0EJNSZ_ILS10_0ELin1ELi0EEEEEEJNSN_3ForILl1ENST_ISW_LSX_0EJNSZ_ILS10_1ELi0ELin1EEEEEEJNS15_ILl0ENST_ISW_LSX_0EJNSZ_ILS10_0ELi0ELin1EEEEEEJNSN_6LambdaILl0EJNSM_IJNS0_9LambdaArgINS0_18lambda_arg_param_tELl0EEEEEEEEENS15_ILl2ENSR_10sequential8seq_execEJNS1A_ILl1EJNSM_IJNS1B_INS0_16lambda_arg_seg_tELl0EEENS1B_IS1I_Ll1EEENS1B_IS1I_Ll2EEEEEES1E_EEEEEENS1A_ILl2EJNSM_IJS1J_S1K_EEES1E_EEEEEEEEEEEEEEEEEENS0_9LoopTypesINSM_IJvvvEEES1X_EEEEEEvT0_.uses_vcc, 1
	.set _ZN4RAJA8internal22HipKernelLauncherFixedILi1024ENS0_8LoopDataIN4camp5tupleIJNS_4SpanINS_9Iterators16numeric_iteratorIiiPiEEiEESA_SA_EEENS4_IJdEEENS3_9resources2v13HipEJZ4mainEUlRdE2_Z4mainEUliiiSG_E2_Z4mainEUliiSG_E2_EEENS0_24HipStatementListExecutorISK_NS3_4listIJNS_9statement4TileILl1ENS_10tile_fixedILl16EEENS_6policy3hip11hip_indexerINS_17iteration_mapping11StridedLoopILm0EEELNS_23kernel_sync_requirementE0EJNS_3hip11IndexGlobalILNS_9named_dimE1ELin1ELi0EEEEEEJNSO_ILl0ESQ_NST_ISW_LSX_0EJNSZ_ILS10_0ELin1ELi0EEEEEEJNSN_3ForILl1ENST_ISW_LSX_0EJNSZ_ILS10_1ELi0ELin1EEEEEEJNS15_ILl0ENST_ISW_LSX_0EJNSZ_ILS10_0ELi0ELin1EEEEEEJNSN_6LambdaILl0EJNSM_IJNS0_9LambdaArgINS0_18lambda_arg_param_tELl0EEEEEEEEENS15_ILl2ENSR_10sequential8seq_execEJNS1A_ILl1EJNSM_IJNS1B_INS0_16lambda_arg_seg_tELl0EEENS1B_IS1I_Ll1EEENS1B_IS1I_Ll2EEEEEES1E_EEEEEENS1A_ILl2EJNSM_IJS1J_S1K_EEES1E_EEEEEEEEEEEEEEEEEENS0_9LoopTypesINSM_IJvvvEEES1X_EEEEEEvT0_.uses_flat_scratch, 0
	.set _ZN4RAJA8internal22HipKernelLauncherFixedILi1024ENS0_8LoopDataIN4camp5tupleIJNS_4SpanINS_9Iterators16numeric_iteratorIiiPiEEiEESA_SA_EEENS4_IJdEEENS3_9resources2v13HipEJZ4mainEUlRdE2_Z4mainEUliiiSG_E2_Z4mainEUliiSG_E2_EEENS0_24HipStatementListExecutorISK_NS3_4listIJNS_9statement4TileILl1ENS_10tile_fixedILl16EEENS_6policy3hip11hip_indexerINS_17iteration_mapping11StridedLoopILm0EEELNS_23kernel_sync_requirementE0EJNS_3hip11IndexGlobalILNS_9named_dimE1ELin1ELi0EEEEEEJNSO_ILl0ESQ_NST_ISW_LSX_0EJNSZ_ILS10_0ELin1ELi0EEEEEEJNSN_3ForILl1ENST_ISW_LSX_0EJNSZ_ILS10_1ELi0ELin1EEEEEEJNS15_ILl0ENST_ISW_LSX_0EJNSZ_ILS10_0ELi0ELin1EEEEEEJNSN_6LambdaILl0EJNSM_IJNS0_9LambdaArgINS0_18lambda_arg_param_tELl0EEEEEEEEENS15_ILl2ENSR_10sequential8seq_execEJNS1A_ILl1EJNSM_IJNS1B_INS0_16lambda_arg_seg_tELl0EEENS1B_IS1I_Ll1EEENS1B_IS1I_Ll2EEEEEES1E_EEEEEENS1A_ILl2EJNSM_IJS1J_S1K_EEES1E_EEEEEEEEEEEEEEEEEENS0_9LoopTypesINSM_IJvvvEEES1X_EEEEEEvT0_.has_dyn_sized_stack, 0
	.set _ZN4RAJA8internal22HipKernelLauncherFixedILi1024ENS0_8LoopDataIN4camp5tupleIJNS_4SpanINS_9Iterators16numeric_iteratorIiiPiEEiEESA_SA_EEENS4_IJdEEENS3_9resources2v13HipEJZ4mainEUlRdE2_Z4mainEUliiiSG_E2_Z4mainEUliiSG_E2_EEENS0_24HipStatementListExecutorISK_NS3_4listIJNS_9statement4TileILl1ENS_10tile_fixedILl16EEENS_6policy3hip11hip_indexerINS_17iteration_mapping11StridedLoopILm0EEELNS_23kernel_sync_requirementE0EJNS_3hip11IndexGlobalILNS_9named_dimE1ELin1ELi0EEEEEEJNSO_ILl0ESQ_NST_ISW_LSX_0EJNSZ_ILS10_0ELin1ELi0EEEEEEJNSN_3ForILl1ENST_ISW_LSX_0EJNSZ_ILS10_1ELi0ELin1EEEEEEJNS15_ILl0ENST_ISW_LSX_0EJNSZ_ILS10_0ELi0ELin1EEEEEEJNSN_6LambdaILl0EJNSM_IJNS0_9LambdaArgINS0_18lambda_arg_param_tELl0EEEEEEEEENS15_ILl2ENSR_10sequential8seq_execEJNS1A_ILl1EJNSM_IJNS1B_INS0_16lambda_arg_seg_tELl0EEENS1B_IS1I_Ll1EEENS1B_IS1I_Ll2EEEEEES1E_EEEEEENS1A_ILl2EJNSM_IJS1J_S1K_EEES1E_EEEEEEEEEEEEEEEEEENS0_9LoopTypesINSM_IJvvvEEES1X_EEEEEEvT0_.has_recursion, 0
	.set _ZN4RAJA8internal22HipKernelLauncherFixedILi1024ENS0_8LoopDataIN4camp5tupleIJNS_4SpanINS_9Iterators16numeric_iteratorIiiPiEEiEESA_SA_EEENS4_IJdEEENS3_9resources2v13HipEJZ4mainEUlRdE2_Z4mainEUliiiSG_E2_Z4mainEUliiSG_E2_EEENS0_24HipStatementListExecutorISK_NS3_4listIJNS_9statement4TileILl1ENS_10tile_fixedILl16EEENS_6policy3hip11hip_indexerINS_17iteration_mapping11StridedLoopILm0EEELNS_23kernel_sync_requirementE0EJNS_3hip11IndexGlobalILNS_9named_dimE1ELin1ELi0EEEEEEJNSO_ILl0ESQ_NST_ISW_LSX_0EJNSZ_ILS10_0ELin1ELi0EEEEEEJNSN_3ForILl1ENST_ISW_LSX_0EJNSZ_ILS10_1ELi0ELin1EEEEEEJNS15_ILl0ENST_ISW_LSX_0EJNSZ_ILS10_0ELi0ELin1EEEEEEJNSN_6LambdaILl0EJNSM_IJNS0_9LambdaArgINS0_18lambda_arg_param_tELl0EEEEEEEEENS15_ILl2ENSR_10sequential8seq_execEJNS1A_ILl1EJNSM_IJNS1B_INS0_16lambda_arg_seg_tELl0EEENS1B_IS1I_Ll1EEENS1B_IS1I_Ll2EEEEEES1E_EEEEEENS1A_ILl2EJNSM_IJS1J_S1K_EEES1E_EEEEEEEEEEEEEEEEEENS0_9LoopTypesINSM_IJvvvEEES1X_EEEEEEvT0_.has_indirect_call, 0
	.section	.AMDGPU.csdata,"",@progbits
; Kernel info:
; codeLenInByte = 848
; TotalNumSgprs: 52
; NumVgprs: 24
; ScratchSize: 0
; MemoryBound: 0
; FloatMode: 240
; IeeeMode: 1
; LDSByteSize: 0 bytes/workgroup (compile time only)
; SGPRBlocks: 0
; VGPRBlocks: 1
; NumSGPRsForWavesPerEU: 52
; NumVGPRsForWavesPerEU: 24
; NamedBarCnt: 0
; Occupancy: 16
; WaveLimiterHint : 0
; COMPUTE_PGM_RSRC2:SCRATCH_EN: 0
; COMPUTE_PGM_RSRC2:USER_SGPR: 2
; COMPUTE_PGM_RSRC2:TRAP_HANDLER: 0
; COMPUTE_PGM_RSRC2:TGID_X_EN: 1
; COMPUTE_PGM_RSRC2:TGID_Y_EN: 1
; COMPUTE_PGM_RSRC2:TGID_Z_EN: 0
; COMPUTE_PGM_RSRC2:TIDIG_COMP_CNT: 1
	.text
	.p2alignl 7, 3214868480
	.fill 96, 4, 3214868480
	.section	.AMDGPU.gpr_maximums,"",@progbits
	.set amdgpu.max_num_vgpr, 0
	.set amdgpu.max_num_agpr, 0
	.set amdgpu.max_num_sgpr, 0
	.text
	.type	__hip_cuid_1933770d99cf0822,@object ; @__hip_cuid_1933770d99cf0822
	.section	.bss,"aw",@nobits
	.globl	__hip_cuid_1933770d99cf0822
__hip_cuid_1933770d99cf0822:
	.byte	0                               ; 0x0
	.size	__hip_cuid_1933770d99cf0822, 1

	.ident	"AMD clang version 22.0.0git (https://github.com/RadeonOpenCompute/llvm-project roc-7.2.4 26084 f58b06dce1f9c15707c5f808fd002e18c2accf7e)"
	.section	".note.GNU-stack","",@progbits
	.addrsig
	.addrsig_sym __hip_cuid_1933770d99cf0822
	.amdgpu_metadata
---
amdhsa.kernels:
  - .args:
      - .offset:         0
        .size:           4
        .value_kind:     by_value
      - .address_space:  global
        .offset:         8
        .size:           8
        .value_kind:     global_buffer
      - .address_space:  global
        .offset:         16
        .size:           8
        .value_kind:     global_buffer
      - .address_space:  global
        .offset:         24
        .size:           8
        .value_kind:     global_buffer
      - .offset:         32
        .size:           4
        .value_kind:     hidden_block_count_x
      - .offset:         36
        .size:           4
        .value_kind:     hidden_block_count_y
      - .offset:         40
        .size:           4
        .value_kind:     hidden_block_count_z
      - .offset:         44
        .size:           2
        .value_kind:     hidden_group_size_x
      - .offset:         46
        .size:           2
        .value_kind:     hidden_group_size_y
      - .offset:         48
        .size:           2
        .value_kind:     hidden_group_size_z
      - .offset:         50
        .size:           2
        .value_kind:     hidden_remainder_x
      - .offset:         52
        .size:           2
        .value_kind:     hidden_remainder_y
      - .offset:         54
        .size:           2
        .value_kind:     hidden_remainder_z
      - .offset:         72
        .size:           8
        .value_kind:     hidden_global_offset_x
      - .offset:         80
        .size:           8
        .value_kind:     hidden_global_offset_y
      - .offset:         88
        .size:           8
        .value_kind:     hidden_global_offset_z
      - .offset:         96
        .size:           2
        .value_kind:     hidden_grid_dims
    .group_segment_fixed_size: 0
    .kernarg_segment_align: 8
    .kernarg_segment_size: 288
    .language:       OpenCL C
    .language_version:
      - 2
      - 0
    .max_flat_workgroup_size: 1024
    .name:           _Z13matMultKerneliPdS_S_
    .private_segment_fixed_size: 0
    .sgpr_count:     9
    .sgpr_spill_count: 0
    .symbol:         _Z13matMultKerneliPdS_S_.kd
    .uniform_work_group_size: 1
    .uses_dynamic_stack: false
    .vgpr_count:     12
    .vgpr_spill_count: 0
    .wavefront_size: 32
  - .args:
      - .offset:         0
        .size:           272
        .value_kind:     by_value
      - .offset:         272
        .size:           4
        .value_kind:     hidden_block_count_x
      - .offset:         276
        .size:           4
        .value_kind:     hidden_block_count_y
      - .offset:         280
        .size:           4
        .value_kind:     hidden_block_count_z
      - .offset:         284
        .size:           2
        .value_kind:     hidden_group_size_x
      - .offset:         286
        .size:           2
        .value_kind:     hidden_group_size_y
      - .offset:         288
        .size:           2
        .value_kind:     hidden_group_size_z
      - .offset:         290
        .size:           2
        .value_kind:     hidden_remainder_x
      - .offset:         292
        .size:           2
        .value_kind:     hidden_remainder_y
      - .offset:         294
        .size:           2
        .value_kind:     hidden_remainder_z
      - .offset:         312
        .size:           8
        .value_kind:     hidden_global_offset_x
      - .offset:         320
        .size:           8
        .value_kind:     hidden_global_offset_y
      - .offset:         328
        .size:           8
        .value_kind:     hidden_global_offset_z
      - .offset:         336
        .size:           2
        .value_kind:     hidden_grid_dims
    .group_segment_fixed_size: 0
    .kernarg_segment_align: 8
    .kernarg_segment_size: 528
    .language:       OpenCL C
    .language_version:
      - 2
      - 0
    .max_flat_workgroup_size: 1024
    .name:           _ZN4RAJA8internal22HipKernelLauncherFixedILi1024ENS0_8LoopDataIN4camp5tupleIJNS_4SpanINS_9Iterators16numeric_iteratorIiiPiEEiEESA_EEENS4_IJEEENS3_9resources2v13HipEJZ4mainEUliiE0_EEENS0_24HipStatementListExecutorISH_NS3_4listIJNS_9statement3ForILl1ENS_6policy3hip11hip_indexerINS_17iteration_mapping11StridedLoopILm0EEELNS_23kernel_sync_requirementE0EJNS_3hip11IndexGlobalILNS_9named_dimE0ELin1ELi0EEEEEEJNSL_ILl0ENSO_ISR_LSS_0EJNSU_ILSV_0ELi0ELin1EEEEEEJNSK_6LambdaILl0EJEEEEEEEEEEEENS0_9LoopTypesINSJ_IJvvEEES16_EEEEEEvT0_
    .private_segment_fixed_size: 0
    .sgpr_count:     50
    .sgpr_spill_count: 0
    .symbol:         _ZN4RAJA8internal22HipKernelLauncherFixedILi1024ENS0_8LoopDataIN4camp5tupleIJNS_4SpanINS_9Iterators16numeric_iteratorIiiPiEEiEESA_EEENS4_IJEEENS3_9resources2v13HipEJZ4mainEUliiE0_EEENS0_24HipStatementListExecutorISH_NS3_4listIJNS_9statement3ForILl1ENS_6policy3hip11hip_indexerINS_17iteration_mapping11StridedLoopILm0EEELNS_23kernel_sync_requirementE0EJNS_3hip11IndexGlobalILNS_9named_dimE0ELin1ELi0EEEEEEJNSL_ILl0ENSO_ISR_LSS_0EJNSU_ILSV_0ELi0ELin1EEEEEEJNSK_6LambdaILl0EJEEEEEEEEEEEENS0_9LoopTypesINSJ_IJvvEEES16_EEEEEEvT0_.kd
    .uniform_work_group_size: 1
    .uses_dynamic_stack: false
    .vgpr_count:     32
    .vgpr_spill_count: 0
    .wavefront_size: 32
  - .args:
      - .offset:         0
        .size:           272
        .value_kind:     by_value
      - .offset:         272
        .size:           4
        .value_kind:     hidden_block_count_x
      - .offset:         276
        .size:           4
        .value_kind:     hidden_block_count_y
      - .offset:         280
        .size:           4
        .value_kind:     hidden_block_count_z
      - .offset:         284
        .size:           2
        .value_kind:     hidden_group_size_x
      - .offset:         286
        .size:           2
        .value_kind:     hidden_group_size_y
      - .offset:         288
        .size:           2
        .value_kind:     hidden_group_size_z
      - .offset:         290
        .size:           2
        .value_kind:     hidden_remainder_x
      - .offset:         292
        .size:           2
        .value_kind:     hidden_remainder_y
      - .offset:         294
        .size:           2
        .value_kind:     hidden_remainder_z
      - .offset:         312
        .size:           8
        .value_kind:     hidden_global_offset_x
      - .offset:         320
        .size:           8
        .value_kind:     hidden_global_offset_y
      - .offset:         328
        .size:           8
        .value_kind:     hidden_global_offset_z
      - .offset:         336
        .size:           2
        .value_kind:     hidden_grid_dims
    .group_segment_fixed_size: 0
    .kernarg_segment_align: 8
    .kernarg_segment_size: 528
    .language:       OpenCL C
    .language_version:
      - 2
      - 0
    .max_flat_workgroup_size: 1024
    .name:           _ZN4RAJA8internal22HipKernelLauncherFixedILi1024ENS0_8LoopDataIN4camp5tupleIJNS_4SpanINS_9Iterators16numeric_iteratorIiiPiEEiEESA_EEENS4_IJEEENS3_9resources2v13HipEJZ4mainEUliiE1_EEENS0_24HipStatementListExecutorISH_NS3_4listIJNS_9statement4TileILl1ENS_10tile_fixedILl16EEENS_6policy3hip11hip_indexerINS_17iteration_mapping11StridedLoopILm0EEELNS_23kernel_sync_requirementE0EJNS_3hip11IndexGlobalILNS_9named_dimE1ELin1ELi0EEEEEEJNSL_ILl0ESN_NSQ_IST_LSU_0EJNSW_ILSX_0ELin1ELi0EEEEEEJNSK_3ForILl1ENSQ_IST_LSU_0EJNSW_ILSX_1ELi0ELin1EEEEEEJNS12_ILl0ENSQ_IST_LSU_0EJNSW_ILSX_0ELi0ELin1EEEEEEJNSK_6LambdaILl0EJEEEEEEEEEEEEEEEEEENS0_9LoopTypesINSJ_IJvvEEES1F_EEEEEEvT0_
    .private_segment_fixed_size: 0
    .sgpr_count:     60
    .sgpr_spill_count: 0
    .symbol:         _ZN4RAJA8internal22HipKernelLauncherFixedILi1024ENS0_8LoopDataIN4camp5tupleIJNS_4SpanINS_9Iterators16numeric_iteratorIiiPiEEiEESA_EEENS4_IJEEENS3_9resources2v13HipEJZ4mainEUliiE1_EEENS0_24HipStatementListExecutorISH_NS3_4listIJNS_9statement4TileILl1ENS_10tile_fixedILl16EEENS_6policy3hip11hip_indexerINS_17iteration_mapping11StridedLoopILm0EEELNS_23kernel_sync_requirementE0EJNS_3hip11IndexGlobalILNS_9named_dimE1ELin1ELi0EEEEEEJNSL_ILl0ESN_NSQ_IST_LSU_0EJNSW_ILSX_0ELin1ELi0EEEEEEJNSK_3ForILl1ENSQ_IST_LSU_0EJNSW_ILSX_1ELi0ELin1EEEEEEJNS12_ILl0ENSQ_IST_LSU_0EJNSW_ILSX_0ELi0ELin1EEEEEEJNSK_6LambdaILl0EJEEEEEEEEEEEEEEEEEENS0_9LoopTypesINSJ_IJvvEEES1F_EEEEEEvT0_.kd
    .uniform_work_group_size: 1
    .uses_dynamic_stack: false
    .vgpr_count:     42
    .vgpr_spill_count: 0
    .wavefront_size: 32
  - .args:
      - .offset:         0
        .size:           288
        .value_kind:     by_value
      - .offset:         288
        .size:           4
        .value_kind:     hidden_block_count_x
      - .offset:         292
        .size:           4
        .value_kind:     hidden_block_count_y
      - .offset:         296
        .size:           4
        .value_kind:     hidden_block_count_z
      - .offset:         300
        .size:           2
        .value_kind:     hidden_group_size_x
      - .offset:         302
        .size:           2
        .value_kind:     hidden_group_size_y
      - .offset:         304
        .size:           2
        .value_kind:     hidden_group_size_z
      - .offset:         306
        .size:           2
        .value_kind:     hidden_remainder_x
      - .offset:         308
        .size:           2
        .value_kind:     hidden_remainder_y
      - .offset:         310
        .size:           2
        .value_kind:     hidden_remainder_z
      - .offset:         328
        .size:           8
        .value_kind:     hidden_global_offset_x
      - .offset:         336
        .size:           8
        .value_kind:     hidden_global_offset_y
      - .offset:         344
        .size:           8
        .value_kind:     hidden_global_offset_z
      - .offset:         352
        .size:           2
        .value_kind:     hidden_grid_dims
    .group_segment_fixed_size: 0
    .kernarg_segment_align: 8
    .kernarg_segment_size: 544
    .language:       OpenCL C
    .language_version:
      - 2
      - 0
    .max_flat_workgroup_size: 1024
    .name:           _ZN4RAJA8internal22HipKernelLauncherFixedILi1024ENS0_8LoopDataIN4camp5tupleIJNS_4SpanINS_9Iterators16numeric_iteratorIiiPiEEiEESA_SA_EEENS4_IJdEEENS3_9resources2v13HipEJZ4mainEUlRdE1_Z4mainEUliiiSG_E1_Z4mainEUliiSG_E1_EEENS0_24HipStatementListExecutorISK_NS3_4listIJNS_9statement3ForILl1ENS_6policy3hip11hip_indexerINS_17iteration_mapping11StridedLoopILm0EEELNS_23kernel_sync_requirementE0EJNS_3hip11IndexGlobalILNS_9named_dimE0ELin1ELi0EEEEEEJNSO_ILl0ENSR_ISU_LSV_0EJNSX_ILSY_0ELi0ELin1EEEEEEJNSN_6LambdaILl0EJNSM_IJNS0_9LambdaArgINS0_18lambda_arg_param_tELl0EEEEEEEEENSO_ILl2ENSP_10sequential8seq_execEJNS13_ILl1EJEEEEEENS13_ILl2EJNSM_IJNS14_INS0_16lambda_arg_seg_tELl0EEENS14_IS1D_Ll1EEEEEES17_EEEEEEEEEEEENS0_9LoopTypesINSM_IJvvvEEES1M_EEEEEEvT0_
    .private_segment_fixed_size: 0
    .sgpr_count:     41
    .sgpr_spill_count: 0
    .symbol:         _ZN4RAJA8internal22HipKernelLauncherFixedILi1024ENS0_8LoopDataIN4camp5tupleIJNS_4SpanINS_9Iterators16numeric_iteratorIiiPiEEiEESA_SA_EEENS4_IJdEEENS3_9resources2v13HipEJZ4mainEUlRdE1_Z4mainEUliiiSG_E1_Z4mainEUliiSG_E1_EEENS0_24HipStatementListExecutorISK_NS3_4listIJNS_9statement3ForILl1ENS_6policy3hip11hip_indexerINS_17iteration_mapping11StridedLoopILm0EEELNS_23kernel_sync_requirementE0EJNS_3hip11IndexGlobalILNS_9named_dimE0ELin1ELi0EEEEEEJNSO_ILl0ENSR_ISU_LSV_0EJNSX_ILSY_0ELi0ELin1EEEEEEJNSN_6LambdaILl0EJNSM_IJNS0_9LambdaArgINS0_18lambda_arg_param_tELl0EEEEEEEEENSO_ILl2ENSP_10sequential8seq_execEJNS13_ILl1EJEEEEEENS13_ILl2EJNSM_IJNS14_INS0_16lambda_arg_seg_tELl0EEENS14_IS1D_Ll1EEEEEES17_EEEEEEEEEEEENS0_9LoopTypesINSM_IJvvvEEES1M_EEEEEEvT0_.kd
    .uniform_work_group_size: 1
    .uses_dynamic_stack: false
    .vgpr_count:     14
    .vgpr_spill_count: 0
    .wavefront_size: 32
  - .args:
      - .offset:         0
        .size:           288
        .value_kind:     by_value
      - .offset:         288
        .size:           4
        .value_kind:     hidden_block_count_x
      - .offset:         292
        .size:           4
        .value_kind:     hidden_block_count_y
      - .offset:         296
        .size:           4
        .value_kind:     hidden_block_count_z
      - .offset:         300
        .size:           2
        .value_kind:     hidden_group_size_x
      - .offset:         302
        .size:           2
        .value_kind:     hidden_group_size_y
      - .offset:         304
        .size:           2
        .value_kind:     hidden_group_size_z
      - .offset:         306
        .size:           2
        .value_kind:     hidden_remainder_x
      - .offset:         308
        .size:           2
        .value_kind:     hidden_remainder_y
      - .offset:         310
        .size:           2
        .value_kind:     hidden_remainder_z
      - .offset:         328
        .size:           8
        .value_kind:     hidden_global_offset_x
      - .offset:         336
        .size:           8
        .value_kind:     hidden_global_offset_y
      - .offset:         344
        .size:           8
        .value_kind:     hidden_global_offset_z
      - .offset:         352
        .size:           2
        .value_kind:     hidden_grid_dims
    .group_segment_fixed_size: 0
    .kernarg_segment_align: 8
    .kernarg_segment_size: 544
    .language:       OpenCL C
    .language_version:
      - 2
      - 0
    .max_flat_workgroup_size: 1024
    .name:           _ZN4RAJA8internal22HipKernelLauncherFixedILi1024ENS0_8LoopDataIN4camp5tupleIJNS_4SpanINS_9Iterators16numeric_iteratorIiiPiEEiEESA_SA_EEENS4_IJdEEENS3_9resources2v13HipEJZ4mainEUlRdE2_Z4mainEUliiiSG_E2_Z4mainEUliiSG_E2_EEENS0_24HipStatementListExecutorISK_NS3_4listIJNS_9statement4TileILl1ENS_10tile_fixedILl16EEENS_6policy3hip11hip_indexerINS_17iteration_mapping11StridedLoopILm0EEELNS_23kernel_sync_requirementE0EJNS_3hip11IndexGlobalILNS_9named_dimE1ELin1ELi0EEEEEEJNSO_ILl0ESQ_NST_ISW_LSX_0EJNSZ_ILS10_0ELin1ELi0EEEEEEJNSN_3ForILl1ENST_ISW_LSX_0EJNSZ_ILS10_1ELi0ELin1EEEEEEJNS15_ILl0ENST_ISW_LSX_0EJNSZ_ILS10_0ELi0ELin1EEEEEEJNSN_6LambdaILl0EJNSM_IJNS0_9LambdaArgINS0_18lambda_arg_param_tELl0EEEEEEEEENS15_ILl2ENSR_10sequential8seq_execEJNS1A_ILl1EJNSM_IJNS1B_INS0_16lambda_arg_seg_tELl0EEENS1B_IS1I_Ll1EEENS1B_IS1I_Ll2EEEEEES1E_EEEEEENS1A_ILl2EJNSM_IJS1J_S1K_EEES1E_EEEEEEEEEEEEEEEEEENS0_9LoopTypesINSM_IJvvvEEES1X_EEEEEEvT0_
    .private_segment_fixed_size: 0
    .sgpr_count:     52
    .sgpr_spill_count: 0
    .symbol:         _ZN4RAJA8internal22HipKernelLauncherFixedILi1024ENS0_8LoopDataIN4camp5tupleIJNS_4SpanINS_9Iterators16numeric_iteratorIiiPiEEiEESA_SA_EEENS4_IJdEEENS3_9resources2v13HipEJZ4mainEUlRdE2_Z4mainEUliiiSG_E2_Z4mainEUliiSG_E2_EEENS0_24HipStatementListExecutorISK_NS3_4listIJNS_9statement4TileILl1ENS_10tile_fixedILl16EEENS_6policy3hip11hip_indexerINS_17iteration_mapping11StridedLoopILm0EEELNS_23kernel_sync_requirementE0EJNS_3hip11IndexGlobalILNS_9named_dimE1ELin1ELi0EEEEEEJNSO_ILl0ESQ_NST_ISW_LSX_0EJNSZ_ILS10_0ELin1ELi0EEEEEEJNSN_3ForILl1ENST_ISW_LSX_0EJNSZ_ILS10_1ELi0ELin1EEEEEEJNS15_ILl0ENST_ISW_LSX_0EJNSZ_ILS10_0ELi0ELin1EEEEEEJNSN_6LambdaILl0EJNSM_IJNS0_9LambdaArgINS0_18lambda_arg_param_tELl0EEEEEEEEENS15_ILl2ENSR_10sequential8seq_execEJNS1A_ILl1EJNSM_IJNS1B_INS0_16lambda_arg_seg_tELl0EEENS1B_IS1I_Ll1EEENS1B_IS1I_Ll2EEEEEES1E_EEEEEENS1A_ILl2EJNSM_IJS1J_S1K_EEES1E_EEEEEEEEEEEEEEEEEENS0_9LoopTypesINSM_IJvvvEEES1X_EEEEEEvT0_.kd
    .uniform_work_group_size: 1
    .uses_dynamic_stack: false
    .vgpr_count:     24
    .vgpr_spill_count: 0
    .wavefront_size: 32
amdhsa.target:   amdgcn-amd-amdhsa--gfx1250
amdhsa.version:
  - 1
  - 2
...

	.end_amdgpu_metadata
